;; amdgpu-corpus repo=ROCm/flash-attention kind=compiled arch=gfx90a opt=O3
	.text
	.amdgcn_target "amdgcn-amd-amdhsa--gfx90a"
	.amdhsa_code_object_version 6
	.section	.text._ZN7ck_tileL11flush_cacheEv,"axG",@progbits,_ZN7ck_tileL11flush_cacheEv,comdat
	.globl	_ZN7ck_tileL11flush_cacheEv     ; -- Begin function _ZN7ck_tileL11flush_cacheEv
	.p2align	8
	.type	_ZN7ck_tileL11flush_cacheEv,@function
_ZN7ck_tileL11flush_cacheEv:            ; @_ZN7ck_tileL11flush_cacheEv
; %bb.0:
	;;#ASMSTART
	s_icache_inv 
	s_nop 0 
	s_nop 0 
	;; [unrolled: 1-line block ×16, first 2 shown]
	
	;;#ASMEND
	s_endpgm
	.section	.rodata,"a",@progbits
	.p2align	6, 0x0
	.amdhsa_kernel _ZN7ck_tileL11flush_cacheEv
		.amdhsa_group_segment_fixed_size 0
		.amdhsa_private_segment_fixed_size 0
		.amdhsa_kernarg_size 0
		.amdhsa_user_sgpr_count 4
		.amdhsa_user_sgpr_private_segment_buffer 1
		.amdhsa_user_sgpr_dispatch_ptr 0
		.amdhsa_user_sgpr_queue_ptr 0
		.amdhsa_user_sgpr_kernarg_segment_ptr 0
		.amdhsa_user_sgpr_dispatch_id 0
		.amdhsa_user_sgpr_flat_scratch_init 0
		.amdhsa_user_sgpr_kernarg_preload_length 0
		.amdhsa_user_sgpr_kernarg_preload_offset 0
		.amdhsa_user_sgpr_private_segment_size 0
		.amdhsa_uses_dynamic_stack 0
		.amdhsa_system_sgpr_private_segment_wavefront_offset 0
		.amdhsa_system_sgpr_workgroup_id_x 1
		.amdhsa_system_sgpr_workgroup_id_y 0
		.amdhsa_system_sgpr_workgroup_id_z 0
		.amdhsa_system_sgpr_workgroup_info 0
		.amdhsa_system_vgpr_workitem_id 0
		.amdhsa_next_free_vgpr 1
		.amdhsa_next_free_sgpr 0
		.amdhsa_accum_offset 4
		.amdhsa_reserve_vcc 0
		.amdhsa_reserve_flat_scratch 0
		.amdhsa_float_round_mode_32 0
		.amdhsa_float_round_mode_16_64 0
		.amdhsa_float_denorm_mode_32 0
		.amdhsa_float_denorm_mode_16_64 3
		.amdhsa_dx10_clamp 1
		.amdhsa_ieee_mode 1
		.amdhsa_fp16_overflow 0
		.amdhsa_tg_split 0
		.amdhsa_exception_fp_ieee_invalid_op 0
		.amdhsa_exception_fp_denorm_src 0
		.amdhsa_exception_fp_ieee_div_zero 0
		.amdhsa_exception_fp_ieee_overflow 0
		.amdhsa_exception_fp_ieee_underflow 0
		.amdhsa_exception_fp_ieee_inexact 0
		.amdhsa_exception_int_div_zero 0
	.end_amdhsa_kernel
	.section	.text._ZN7ck_tileL11flush_cacheEv,"axG",@progbits,_ZN7ck_tileL11flush_cacheEv,comdat
.Lfunc_end0:
	.size	_ZN7ck_tileL11flush_cacheEv, .Lfunc_end0-_ZN7ck_tileL11flush_cacheEv
                                        ; -- End function
	.section	.AMDGPU.csdata,"",@progbits
; Kernel info:
; codeLenInByte = 140
; NumSgprs: 4
; NumVgprs: 0
; NumAgprs: 0
; TotalNumVgprs: 0
; ScratchSize: 0
; MemoryBound: 0
; FloatMode: 192
; IeeeMode: 1
; LDSByteSize: 0 bytes/workgroup (compile time only)
; SGPRBlocks: 0
; VGPRBlocks: 0
; NumSGPRsForWavesPerEU: 4
; NumVGPRsForWavesPerEU: 1
; AccumOffset: 4
; Occupancy: 8
; WaveLimiterHint : 0
; COMPUTE_PGM_RSRC2:SCRATCH_EN: 0
; COMPUTE_PGM_RSRC2:USER_SGPR: 4
; COMPUTE_PGM_RSRC2:TRAP_HANDLER: 0
; COMPUTE_PGM_RSRC2:TGID_X_EN: 1
; COMPUTE_PGM_RSRC2:TGID_Y_EN: 0
; COMPUTE_PGM_RSRC2:TGID_Z_EN: 0
; COMPUTE_PGM_RSRC2:TIDIG_COMP_CNT: 0
; COMPUTE_PGM_RSRC3_GFX90A:ACCUM_OFFSET: 0
; COMPUTE_PGM_RSRC3_GFX90A:TG_SPLIT: 0
	.section	.text._ZN7ck_tile6kentryINS_6gfx9_tELi3ENS_13FmhaFwdKernelINS_28BlockFmhaPipelineQRKSVSAsyncINS_24BlockFmhaPipelineProblemItttffthftftNS_13TileFmhaShapeINS_8sequenceIJLi128ELi64ELi32ELi64ELi32ELi64EEEENS6_IJLi4ELi1ELi1EEEENS6_IJLi32ELi32ELi16EEEES8_S9_Lb1EEELb0ENS_17ComposedAttentionILj4ELb1EEENS_30SimplifiedGenericAttentionMaskILb1EEELb0ENS_14TileFmhaTraitsILb1ELb0ELb1ELb1ELb1ELNS_22BlockAttentionBiasEnumE0ELb0ELb1ELb1ELNS_28BlockAttentionQuantScaleEnumE0ELin1ELb0ELb0EEEEENS_35BlockFmhaPipelineQXKSVSCustomPolicyILb1ELb1ELi3ELi3EEEEENS_17Default2DEpilogueINS_24Default2DEpilogueProblemIftLb1ELb1ELb1EEEvEEEEJNSR_21FmhaFwdBatchModeKargsEEEENSt9enable_ifIXnt26kattr_no_packed_fp32_ops_vIT_EEvE4typeEDpT2_,"axG",@progbits,_ZN7ck_tile6kentryINS_6gfx9_tELi3ENS_13FmhaFwdKernelINS_28BlockFmhaPipelineQRKSVSAsyncINS_24BlockFmhaPipelineProblemItttffthftftNS_13TileFmhaShapeINS_8sequenceIJLi128ELi64ELi32ELi64ELi32ELi64EEEENS6_IJLi4ELi1ELi1EEEENS6_IJLi32ELi32ELi16EEEES8_S9_Lb1EEELb0ENS_17ComposedAttentionILj4ELb1EEENS_30SimplifiedGenericAttentionMaskILb1EEELb0ENS_14TileFmhaTraitsILb1ELb0ELb1ELb1ELb1ELNS_22BlockAttentionBiasEnumE0ELb0ELb1ELb1ELNS_28BlockAttentionQuantScaleEnumE0ELin1ELb0ELb0EEEEENS_35BlockFmhaPipelineQXKSVSCustomPolicyILb1ELb1ELi3ELi3EEEEENS_17Default2DEpilogueINS_24Default2DEpilogueProblemIftLb1ELb1ELb1EEEvEEEEJNSR_21FmhaFwdBatchModeKargsEEEENSt9enable_ifIXnt26kattr_no_packed_fp32_ops_vIT_EEvE4typeEDpT2_,comdat
	.protected	_ZN7ck_tile6kentryINS_6gfx9_tELi3ENS_13FmhaFwdKernelINS_28BlockFmhaPipelineQRKSVSAsyncINS_24BlockFmhaPipelineProblemItttffthftftNS_13TileFmhaShapeINS_8sequenceIJLi128ELi64ELi32ELi64ELi32ELi64EEEENS6_IJLi4ELi1ELi1EEEENS6_IJLi32ELi32ELi16EEEES8_S9_Lb1EEELb0ENS_17ComposedAttentionILj4ELb1EEENS_30SimplifiedGenericAttentionMaskILb1EEELb0ENS_14TileFmhaTraitsILb1ELb0ELb1ELb1ELb1ELNS_22BlockAttentionBiasEnumE0ELb0ELb1ELb1ELNS_28BlockAttentionQuantScaleEnumE0ELin1ELb0ELb0EEEEENS_35BlockFmhaPipelineQXKSVSCustomPolicyILb1ELb1ELi3ELi3EEEEENS_17Default2DEpilogueINS_24Default2DEpilogueProblemIftLb1ELb1ELb1EEEvEEEEJNSR_21FmhaFwdBatchModeKargsEEEENSt9enable_ifIXnt26kattr_no_packed_fp32_ops_vIT_EEvE4typeEDpT2_ ; -- Begin function _ZN7ck_tile6kentryINS_6gfx9_tELi3ENS_13FmhaFwdKernelINS_28BlockFmhaPipelineQRKSVSAsyncINS_24BlockFmhaPipelineProblemItttffthftftNS_13TileFmhaShapeINS_8sequenceIJLi128ELi64ELi32ELi64ELi32ELi64EEEENS6_IJLi4ELi1ELi1EEEENS6_IJLi32ELi32ELi16EEEES8_S9_Lb1EEELb0ENS_17ComposedAttentionILj4ELb1EEENS_30SimplifiedGenericAttentionMaskILb1EEELb0ENS_14TileFmhaTraitsILb1ELb0ELb1ELb1ELb1ELNS_22BlockAttentionBiasEnumE0ELb0ELb1ELb1ELNS_28BlockAttentionQuantScaleEnumE0ELin1ELb0ELb0EEEEENS_35BlockFmhaPipelineQXKSVSCustomPolicyILb1ELb1ELi3ELi3EEEEENS_17Default2DEpilogueINS_24Default2DEpilogueProblemIftLb1ELb1ELb1EEEvEEEEJNSR_21FmhaFwdBatchModeKargsEEEENSt9enable_ifIXnt26kattr_no_packed_fp32_ops_vIT_EEvE4typeEDpT2_
	.globl	_ZN7ck_tile6kentryINS_6gfx9_tELi3ENS_13FmhaFwdKernelINS_28BlockFmhaPipelineQRKSVSAsyncINS_24BlockFmhaPipelineProblemItttffthftftNS_13TileFmhaShapeINS_8sequenceIJLi128ELi64ELi32ELi64ELi32ELi64EEEENS6_IJLi4ELi1ELi1EEEENS6_IJLi32ELi32ELi16EEEES8_S9_Lb1EEELb0ENS_17ComposedAttentionILj4ELb1EEENS_30SimplifiedGenericAttentionMaskILb1EEELb0ENS_14TileFmhaTraitsILb1ELb0ELb1ELb1ELb1ELNS_22BlockAttentionBiasEnumE0ELb0ELb1ELb1ELNS_28BlockAttentionQuantScaleEnumE0ELin1ELb0ELb0EEEEENS_35BlockFmhaPipelineQXKSVSCustomPolicyILb1ELb1ELi3ELi3EEEEENS_17Default2DEpilogueINS_24Default2DEpilogueProblemIftLb1ELb1ELb1EEEvEEEEJNSR_21FmhaFwdBatchModeKargsEEEENSt9enable_ifIXnt26kattr_no_packed_fp32_ops_vIT_EEvE4typeEDpT2_
	.p2align	8
	.type	_ZN7ck_tile6kentryINS_6gfx9_tELi3ENS_13FmhaFwdKernelINS_28BlockFmhaPipelineQRKSVSAsyncINS_24BlockFmhaPipelineProblemItttffthftftNS_13TileFmhaShapeINS_8sequenceIJLi128ELi64ELi32ELi64ELi32ELi64EEEENS6_IJLi4ELi1ELi1EEEENS6_IJLi32ELi32ELi16EEEES8_S9_Lb1EEELb0ENS_17ComposedAttentionILj4ELb1EEENS_30SimplifiedGenericAttentionMaskILb1EEELb0ENS_14TileFmhaTraitsILb1ELb0ELb1ELb1ELb1ELNS_22BlockAttentionBiasEnumE0ELb0ELb1ELb1ELNS_28BlockAttentionQuantScaleEnumE0ELin1ELb0ELb0EEEEENS_35BlockFmhaPipelineQXKSVSCustomPolicyILb1ELb1ELi3ELi3EEEEENS_17Default2DEpilogueINS_24Default2DEpilogueProblemIftLb1ELb1ELb1EEEvEEEEJNSR_21FmhaFwdBatchModeKargsEEEENSt9enable_ifIXnt26kattr_no_packed_fp32_ops_vIT_EEvE4typeEDpT2_,@function
_ZN7ck_tile6kentryINS_6gfx9_tELi3ENS_13FmhaFwdKernelINS_28BlockFmhaPipelineQRKSVSAsyncINS_24BlockFmhaPipelineProblemItttffthftftNS_13TileFmhaShapeINS_8sequenceIJLi128ELi64ELi32ELi64ELi32ELi64EEEENS6_IJLi4ELi1ELi1EEEENS6_IJLi32ELi32ELi16EEEES8_S9_Lb1EEELb0ENS_17ComposedAttentionILj4ELb1EEENS_30SimplifiedGenericAttentionMaskILb1EEELb0ENS_14TileFmhaTraitsILb1ELb0ELb1ELb1ELb1ELNS_22BlockAttentionBiasEnumE0ELb0ELb1ELb1ELNS_28BlockAttentionQuantScaleEnumE0ELin1ELb0ELb0EEEEENS_35BlockFmhaPipelineQXKSVSCustomPolicyILb1ELb1ELi3ELi3EEEEENS_17Default2DEpilogueINS_24Default2DEpilogueProblemIftLb1ELb1ELb1EEEvEEEEJNSR_21FmhaFwdBatchModeKargsEEEENSt9enable_ifIXnt26kattr_no_packed_fp32_ops_vIT_EEvE4typeEDpT2_: ; @_ZN7ck_tile6kentryINS_6gfx9_tELi3ENS_13FmhaFwdKernelINS_28BlockFmhaPipelineQRKSVSAsyncINS_24BlockFmhaPipelineProblemItttffthftftNS_13TileFmhaShapeINS_8sequenceIJLi128ELi64ELi32ELi64ELi32ELi64EEEENS6_IJLi4ELi1ELi1EEEENS6_IJLi32ELi32ELi16EEEES8_S9_Lb1EEELb0ENS_17ComposedAttentionILj4ELb1EEENS_30SimplifiedGenericAttentionMaskILb1EEELb0ENS_14TileFmhaTraitsILb1ELb0ELb1ELb1ELb1ELNS_22BlockAttentionBiasEnumE0ELb0ELb1ELb1ELNS_28BlockAttentionQuantScaleEnumE0ELin1ELb0ELb0EEEEENS_35BlockFmhaPipelineQXKSVSCustomPolicyILb1ELb1ELi3ELi3EEEEENS_17Default2DEpilogueINS_24Default2DEpilogueProblemIftLb1ELb1ELb1EEEvEEEEJNSR_21FmhaFwdBatchModeKargsEEEENSt9enable_ifIXnt26kattr_no_packed_fp32_ops_vIT_EEvE4typeEDpT2_
; %bb.0:
	s_load_dwordx16 s[16:31], s[4:5], 0x28
	s_add_u32 flat_scratch_lo, s6, s11
	s_addc_u32 flat_scratch_hi, s7, 0
	s_add_u32 s0, s0, s11
	s_addc_u32 s1, s1, 0
	s_waitcnt lgkmcnt(0)
	s_add_i32 s6, s19, 63
	s_ashr_i32 s7, s6, 31
	s_lshr_b32 s7, s7, 26
	s_add_i32 s6, s6, s7
	s_ashr_i32 s11, s6, 6
	s_abs_i32 s12, s11
	v_cvt_f32_u32_e32 v1, s12
	s_xor_b32 s14, s9, s11
	s_ashr_i32 s33, s14, 31
	s_sub_i32 s14, 0, s12
	v_rcp_iflag_f32_e32 v1, v1
	s_abs_i32 s13, s9
	s_load_dwordx2 s[6:7], s[4:5], 0x20
	v_mul_f32_e32 v1, 0x4f7ffffe, v1
	v_cvt_u32_f32_e32 v1, v1
	v_readfirstlane_b32 s15, v1
	s_mul_i32 s14, s14, s15
	s_mul_hi_u32 s14, s15, s14
	s_add_i32 s15, s15, s14
	s_mul_hi_u32 s14, s13, s15
	s_mul_i32 s15, s14, s12
	s_sub_i32 s13, s13, s15
	s_add_i32 s34, s14, 1
	s_sub_i32 s15, s13, s12
	s_cmp_ge_u32 s13, s12
	s_cselect_b32 s14, s34, s14
	s_cselect_b32 s13, s15, s13
	s_add_i32 s15, s14, 1
	s_cmp_ge_u32 s13, s12
	s_cselect_b32 s34, s15, s14
	s_load_dwordx4 s[12:15], s[4:5], 0xe0
	s_load_dword s36, s[4:5], 0xf4
	s_load_dword s35, s[4:5], 0x104
	s_xor_b32 s34, s34, s33
	s_sub_i32 s33, s34, s33
	s_mul_i32 s11, s33, s11
	s_sub_i32 s9, s9, s11
	s_waitcnt lgkmcnt(0)
	v_cmp_ne_u16_e64 s[34:35], s35, 0
	s_not_b32 s11, s33
	s_cmp_lg_u64 s[34:35], 0
	s_addc_u32 s11, s36, s11
	s_lshl_b32 s64, s11, 7
	s_lshl_b32 s33, s9, 6
	s_cmp_eq_u64 s[6:7], 0
	s_cbranch_scc1 .LBB1_73
; %bb.1:
	s_ashr_i32 s9, s8, 31
	s_lshl_b64 s[34:35], s[8:9], 2
	s_add_u32 s6, s6, s34
	s_addc_u32 s7, s7, s35
	s_load_dword s9, s[6:7], 0x0
	v_mov_b32_e32 v1, s22
	s_waitcnt lgkmcnt(0)
	v_mov_b32_e32 v2, s9
	v_div_scale_f32 v3, s[6:7], s22, s22, v2
	v_rcp_f32_e32 v4, v3
	v_div_scale_f32 v1, vcc, s9, v1, s9
	s_setreg_imm32_b32 hwreg(HW_REG_MODE, 4, 2), 3
	v_fma_f32 v5, -v3, v4, 1.0
	v_fmac_f32_e32 v4, v5, v4
	v_mul_f32_e32 v5, v1, v4
	v_fma_f32 v6, -v3, v5, v1
	v_fmac_f32_e32 v5, v6, v4
	v_fma_f32 v1, -v3, v5, v1
	s_setreg_imm32_b32 hwreg(HW_REG_MODE, 4, 2), 0
	v_div_fmas_f32 v1, v1, v4, v5
	v_div_fixup_f32 v99, v1, s22, v2
	s_ashr_i32 s11, s10, 31
	s_cmp_eq_u64 s[12:13], 0
	s_cbranch_scc1 .LBB1_3
.LBB1_2:
	s_lshl_b64 s[6:7], s[10:11], 2
	s_add_u32 s6, s12, s6
	s_addc_u32 s7, s13, s7
	s_load_dwordx2 s[6:7], s[6:7], 0x0
	s_waitcnt lgkmcnt(0)
	s_sub_i32 s16, s7, s6
.LBB1_3:
	s_load_dwordx8 s[36:43], s[4:5], 0x0
	s_load_dwordx8 s[44:51], s[4:5], 0xb8
	s_load_dwordx4 s[52:55], s[4:5], 0x68
	s_load_dwordx4 s[56:59], s[4:5], 0x90
	s_load_dword s6, s[4:5], 0xa0
	s_cmp_eq_u64 s[14:15], 0
	s_cbranch_scc1 .LBB1_5
; %bb.4:
	s_lshl_b64 s[12:13], s[10:11], 2
	s_add_u32 s12, s14, s12
	s_addc_u32 s13, s15, s13
	s_load_dwordx2 s[12:13], s[12:13], 0x0
	s_waitcnt lgkmcnt(0)
	s_sub_i32 s17, s13, s12
.LBB1_5:
	s_abs_i32 s67, s21
	v_cvt_f32_u32_e32 v1, s67
	s_load_dword s9, s[4:5], 0xd8
	s_waitcnt lgkmcnt(0)
	s_bitcmp1_b32 s6, 0
	s_cselect_b64 s[12:13], -1, 0
	v_rcp_iflag_f32_e32 v1, v1
	v_pk_mov_b32 v[2:3], s[56:57], s[56:57] op_sel:[0,1]
	s_xor_b64 s[6:7], s[12:13], -1
	s_and_b64 vcc, exec, s[12:13]
	v_mul_f32_e32 v1, 0x4f7ffffe, v1
	v_cvt_u32_f32_e32 v1, v1
	v_readfirstlane_b32 s55, v1
	s_cbranch_vccnz .LBB1_7
; %bb.6:
	v_pk_mov_b32 v[2:3], s[56:57], s[56:57] op_sel:[0,1]
	flat_load_dwordx2 v[2:3], v[2:3]
.LBB1_7:
	s_andn2_b64 vcc, exec, s[6:7]
	v_pk_mov_b32 v[4:5], s[58:59], s[58:59] op_sel:[0,1]
	s_cbranch_vccnz .LBB1_9
; %bb.8:
	v_pk_mov_b32 v[4:5], s[58:59], s[58:59] op_sel:[0,1]
	flat_load_dwordx2 v[4:5], v[4:5]
.LBB1_9:
	s_mul_hi_i32 s13, s27, s8
	s_mul_i32 s12, s27, s8
	s_lshl_b64 s[12:13], s[12:13], 1
	s_add_u32 s12, s36, s12
	s_addc_u32 s13, s37, s13
	s_add_i32 s11, s16, -1
	s_add_u32 s15, 0, 0
	s_mul_hi_i32 s7, s49, s10
	s_mul_i32 s6, s49, s10
	s_addc_u32 s15, s18, -1
	s_add_u32 s68, s15, 1
	s_lshl_b64 s[6:7], s[6:7], 1
	s_mul_i32 s14, s23, s11
	s_add_u32 s36, s12, s6
	s_addc_u32 s37, s13, s7
	s_add_i32 s14, s14, s68
	s_cmp_gt_i32 s31, 0
	s_cselect_b32 s6, s31, s20
	s_add_i32 s7, s52, s8
	s_mul_i32 s6, s6, s10
	s_add_i32 s7, s7, s6
	s_lshl_b32 s6, s7, 6
	s_ashr_i32 s7, s6, 31
	s_waitcnt vmcnt(0) lgkmcnt(0)
	v_readfirstlane_b32 s20, v2
	v_mov_b32_e32 v1, s7
	v_add_co_u32_e32 v2, vcc, s6, v4
	v_lshrrev_b32_e32 v91, 6, v0
	v_mbcnt_lo_u32_b32 v0, -1, 0
	v_addc_co_u32_e32 v1, vcc, v5, v1, vcc
	v_mbcnt_hi_u32_b32 v5, -1, v0
	v_and_b32_e32 v7, 31, v5
	v_readfirstlane_b32 s6, v91
	v_lshrrev_b32_e32 v6, 5, v5
	v_add_u32_e32 v98, s64, v7
	v_readfirstlane_b32 s65, v2
	v_lshlrev_b32_e32 v4, 3, v6
	v_lshl_add_u32 v2, s6, 5, v98
	v_readfirstlane_b32 s66, v1
	v_mad_u64_u32 v[0:1], s[6:7], v2, s23, v[4:5]
	v_cmp_gt_i32_e64 s[6:7], s18, v4
	v_cmp_gt_i32_e32 vcc, s16, v2
	v_readfirstlane_b32 s27, v3
	s_lshl_b32 s23, s14, 1
	s_and_b64 s[6:7], s[6:7], vcc
	v_mov_b32_e32 v64, 0
	v_lshlrev_b32_e32 v8, 1, v0
	v_mov_b32_e32 v68, 0
	v_mov_b32_e32 v69, 0
	;; [unrolled: 1-line block ×4, first 2 shown]
	s_and_saveexec_b64 s[14:15], s[6:7]
	s_cbranch_execz .LBB1_13
; %bb.10:
	s_lshr_b32 s6, s23, 8
	s_lshr_b32 s12, s23, 24
	;; [unrolled: 1-line block ×3, first 2 shown]
	v_lshlrev_b16_e64 v0, 8, s6
	v_lshlrev_b16_e64 v1, 8, s12
	v_or_b32_sdwa v0, s23, v0 dst_sel:DWORD dst_unused:UNUSED_PAD src0_sel:BYTE_0 src1_sel:DWORD
	v_or_b32_sdwa v1, s7, v1 dst_sel:WORD_1 dst_unused:UNUSED_PAD src0_sel:BYTE_0 src1_sel:DWORD
	v_or_b32_sdwa v2, v0, v1 dst_sel:DWORD dst_unused:UNUSED_PAD src0_sel:WORD_0 src1_sel:DWORD
	v_mov_b32_e32 v0, s36
	v_mov_b32_e32 v1, s37
	;; [unrolled: 1-line block ×3, first 2 shown]
	s_mov_b64 s[34:35], exec
.LBB1_11:                               ; =>This Inner Loop Header: Depth=1
	v_readfirstlane_b32 s56, v0
	v_readfirstlane_b32 s57, v1
	;; [unrolled: 1-line block ×4, first 2 shown]
	v_cmp_eq_u64_e64 s[6:7], s[56:57], v[0:1]
	v_cmp_eq_u64_e64 s[12:13], s[58:59], v[2:3]
	s_and_b64 s[6:7], s[6:7], s[12:13]
	s_and_saveexec_b64 s[6:7], s[6:7]
	s_nop 0
	buffer_load_dwordx4 v[68:71], v8, s[56:59], 0 offen
                                        ; implicit-def: $vgpr0_vgpr1_vgpr2_vgpr3
	s_xor_b64 exec, exec, s[6:7]
	s_cbranch_execnz .LBB1_11
; %bb.12:
	s_mov_b64 exec, s[34:35]
.LBB1_13:
	s_or_b64 exec, exec, s[14:15]
	v_add_u32_e32 v0, 16, v4
	v_cmp_gt_i32_e64 s[6:7], s18, v0
	s_and_b64 s[6:7], vcc, s[6:7]
	v_mov_b32_e32 v65, 0
	v_mov_b32_e32 v66, 0
	;; [unrolled: 1-line block ×3, first 2 shown]
	;;#ASMSTART
	;;#ASMEND
	s_and_saveexec_b64 s[14:15], s[6:7]
	s_cbranch_execz .LBB1_17
; %bb.14:
	s_lshr_b32 s6, s23, 8
	s_lshr_b32 s12, s23, 24
	;; [unrolled: 1-line block ×3, first 2 shown]
	v_lshlrev_b16_e64 v0, 8, s6
	v_lshlrev_b16_e64 v1, 8, s12
	v_or_b32_sdwa v0, s23, v0 dst_sel:DWORD dst_unused:UNUSED_PAD src0_sel:BYTE_0 src1_sel:DWORD
	v_or_b32_sdwa v1, s7, v1 dst_sel:WORD_1 dst_unused:UNUSED_PAD src0_sel:BYTE_0 src1_sel:DWORD
	v_or_b32_sdwa v2, v0, v1 dst_sel:DWORD dst_unused:UNUSED_PAD src0_sel:WORD_0 src1_sel:DWORD
	v_mov_b32_e32 v0, s36
	v_mov_b32_e32 v1, s37
	;; [unrolled: 1-line block ×3, first 2 shown]
	s_mov_b64 s[34:35], exec
.LBB1_15:                               ; =>This Inner Loop Header: Depth=1
	v_readfirstlane_b32 s56, v0
	v_readfirstlane_b32 s57, v1
	;; [unrolled: 1-line block ×4, first 2 shown]
	v_cmp_eq_u64_e64 s[6:7], s[56:57], v[0:1]
	v_cmp_eq_u64_e64 s[12:13], s[58:59], v[2:3]
	s_and_b64 s[6:7], s[6:7], s[12:13]
	s_and_saveexec_b64 s[6:7], s[6:7]
	s_nop 0
	buffer_load_dwordx4 v[64:67], v8, s[56:59], 0 offen offset:32
                                        ; implicit-def: $vgpr0_vgpr1_vgpr2_vgpr3
	s_xor_b64 exec, exec, s[6:7]
	s_cbranch_execnz .LBB1_15
; %bb.16:
	s_mov_b64 exec, s[34:35]
.LBB1_17:
	s_or_b64 exec, exec, s[14:15]
	s_load_dwordx4 s[56:59], s[4:5], 0x80
	v_or_b32_e32 v0, 32, v4
	v_cmp_gt_i32_e64 s[6:7], s18, v0
	s_and_b64 s[6:7], vcc, s[6:7]
	v_mov_b32_e32 v76, 0
	v_mov_b32_e32 v72, 0
	;; [unrolled: 1-line block ×5, first 2 shown]
	;;#ASMSTART
	;;#ASMEND
	s_and_saveexec_b64 s[14:15], s[6:7]
	s_cbranch_execz .LBB1_21
; %bb.18:
	s_lshr_b32 s6, s23, 8
	s_lshr_b32 s12, s23, 24
	s_lshr_b32 s7, s23, 16
	v_lshlrev_b16_e64 v0, 8, s6
	v_lshlrev_b16_e64 v1, 8, s12
	v_or_b32_sdwa v0, s23, v0 dst_sel:DWORD dst_unused:UNUSED_PAD src0_sel:BYTE_0 src1_sel:DWORD
	v_or_b32_sdwa v1, s7, v1 dst_sel:WORD_1 dst_unused:UNUSED_PAD src0_sel:BYTE_0 src1_sel:DWORD
	v_or_b32_sdwa v2, v0, v1 dst_sel:DWORD dst_unused:UNUSED_PAD src0_sel:WORD_0 src1_sel:DWORD
	v_mov_b32_e32 v0, s36
	v_mov_b32_e32 v1, s37
	;; [unrolled: 1-line block ×3, first 2 shown]
	s_mov_b64 s[34:35], exec
.LBB1_19:                               ; =>This Inner Loop Header: Depth=1
	v_readfirstlane_b32 s60, v0
	v_readfirstlane_b32 s61, v1
	;; [unrolled: 1-line block ×4, first 2 shown]
	v_cmp_eq_u64_e64 s[6:7], s[60:61], v[0:1]
	v_cmp_eq_u64_e64 s[12:13], s[62:63], v[2:3]
	s_and_b64 s[6:7], s[6:7], s[12:13]
	s_and_saveexec_b64 s[6:7], s[6:7]
	s_nop 0
	buffer_load_dwordx4 v[72:75], v8, s[60:63], 0 offen offset:64
                                        ; implicit-def: $vgpr0_vgpr1_vgpr2_vgpr3
	s_xor_b64 exec, exec, s[6:7]
	s_cbranch_execnz .LBB1_19
; %bb.20:
	s_mov_b64 exec, s[34:35]
.LBB1_21:
	s_or_b64 exec, exec, s[14:15]
	s_load_dword s31, s[4:5], 0x78
	v_add_u32_e32 v0, 48, v4
	v_cmp_gt_i32_e64 s[6:7], s18, v0
	s_and_b64 s[6:7], vcc, s[6:7]
	v_mov_b32_e32 v77, 0
	v_mov_b32_e32 v78, 0
	;; [unrolled: 1-line block ×3, first 2 shown]
	;;#ASMSTART
	;;#ASMEND
	s_and_saveexec_b64 s[34:35], s[6:7]
	s_cbranch_execz .LBB1_25
; %bb.22:
	s_lshr_b32 s6, s23, 8
	s_lshr_b32 s12, s23, 24
	;; [unrolled: 1-line block ×3, first 2 shown]
	v_lshlrev_b16_e64 v0, 8, s6
	v_lshlrev_b16_e64 v1, 8, s12
	v_or_b32_sdwa v0, s23, v0 dst_sel:DWORD dst_unused:UNUSED_PAD src0_sel:BYTE_0 src1_sel:DWORD
	v_or_b32_sdwa v1, s7, v1 dst_sel:WORD_1 dst_unused:UNUSED_PAD src0_sel:BYTE_0 src1_sel:DWORD
	v_or_b32_sdwa v2, v0, v1 dst_sel:DWORD dst_unused:UNUSED_PAD src0_sel:WORD_0 src1_sel:DWORD
	v_mov_b32_e32 v0, s36
	v_mov_b32_e32 v1, s37
	;; [unrolled: 1-line block ×3, first 2 shown]
	s_mov_b64 s[36:37], exec
.LBB1_23:                               ; =>This Inner Loop Header: Depth=1
	v_readfirstlane_b32 s12, v0
	v_readfirstlane_b32 s13, v1
	;; [unrolled: 1-line block ×4, first 2 shown]
	v_cmp_eq_u64_e32 vcc, s[12:13], v[0:1]
	v_cmp_eq_u64_e64 s[6:7], s[14:15], v[2:3]
	s_and_b64 s[6:7], vcc, s[6:7]
	s_and_saveexec_b64 s[6:7], s[6:7]
	s_nop 0
	buffer_load_dwordx4 v[76:79], v8, s[12:15], 0 offen offset:96
                                        ; implicit-def: $vgpr0_vgpr1_vgpr2_vgpr3
                                        ; implicit-def: $vgpr8
	s_xor_b64 exec, exec, s[6:7]
	s_cbranch_execnz .LBB1_23
; %bb.24:
	s_mov_b64 exec, s[36:37]
.LBB1_25:
	s_or_b64 exec, exec, s[34:35]
	s_sub_i32 s7, s16, s17
	s_sub_i32 s6, s17, s16
	s_add_i32 s7, s7, 1
	s_waitcnt lgkmcnt(0)
	s_cmp_eq_u32 s31, 1
	s_cselect_b32 s12, 1, s7
	s_add_i32 s6, s6, 1
	s_cmp_eq_u32 s31, 1
	s_cselect_b32 s6, 1, s6
	s_add_i32 s7, s17, -1
	s_cmp_eq_u32 s31, 1
	s_cselect_b32 s13, s11, s7
	s_cselect_b32 s14, s7, s11
	s_cmp_lt_i32 s53, 0
	s_cselect_b32 s23, s13, s53
	s_cmp_lt_i32 s54, 0
	s_cselect_b32 s18, s14, s54
	s_add_i32 s18, s18, s6
	s_add_i32 s23, s23, s12
	s_add_u32 s6, 0, 0
	s_addc_u32 s6, s19, -1
	s_mul_hi_i32 s35, s58, s8
	s_mul_i32 s34, s58, s8
	s_add_u32 s14, s6, 1
	s_lshl_b64 s[34:35], s[34:35], 2
	s_mul_hi_i32 s13, s59, s10
	s_mul_i32 s12, s59, s10
	s_add_u32 s6, s56, s34
	s_addc_u32 s31, s57, s35
	s_lshl_b64 s[12:13], s[12:13], 2
	s_add_u32 s36, s6, s12
	s_mov_b32 s15, 1
	s_addc_u32 s37, s31, s13
	;;#ASMSTART
	;;#ASMEND
	; sched_barrier mask(0x00000000)
	; sched_barrier mask(0x00000000)
	s_sub_i32 s6, s64, s23
	s_max_i32 s6, s6, -1
	s_add_i32 s31, s6, 1
	s_add_i32 s6, s18, s64
	;; [unrolled: 1-line block ×3, first 2 shown]
	s_min_i32 s12, s12, s17
	s_add_i32 s12, s12, 63
	s_ashr_i32 s13, s12, 31
	s_lshr_b32 s13, s13, 26
	s_add_i32 s12, s12, s13
	s_andn2_b32 s31, s31, 63
	s_andn2_b32 s12, s12, 63
	s_sub_i32 s12, s12, s31
	s_or_b32 s12, s12, 63
	s_cmp_gt_i32 s12, 63
	v_lshrrev_b32_e32 v100, 3, v5
	s_cbranch_scc0 .LBB1_37
; %bb.26:
	s_sub_i32 s13, 0, s67
	s_mul_i32 s13, s13, s55
	s_mul_hi_u32 s13, s55, s13
	s_abs_i32 s35, s8
	s_add_i32 s13, s55, s13
	s_load_dwordx4 s[52:55], s[4:5], 0xa8
	s_mul_hi_u32 s4, s35, s13
	s_ashr_i32 s13, s21, 31
	s_ashr_i32 s21, s12, 31
	s_lshr_b32 s21, s21, 26
	s_add_i32 s12, s12, s21
	s_ashr_i32 s5, s8, 31
	s_ashr_i32 s21, s12, 6
	s_add_u32 s49, 0, 0
	s_addc_u32 s49, s17, -1
	s_mul_i32 s56, s44, s11
	s_add_i32 s49, s49, s56
	s_add_i32 s58, s49, 1
	s_mul_hi_i32 s49, s45, s8
	s_mul_i32 s45, s45, s8
	s_waitcnt lgkmcnt(0)
	s_add_u32 s45, s54, s45
	s_mul_hi_i32 s12, s46, s10
	s_mul_i32 s46, s46, s10
	s_addc_u32 s49, s55, s49
	s_add_u32 s56, s45, s46
	s_addc_u32 s57, s49, s12
	s_mul_i32 s12, s4, s67
	s_sub_i32 s12, s35, s12
	s_xor_b32 s5, s5, s13
	s_add_i32 s13, s4, 1
	s_sub_i32 s35, s12, s67
	s_cmp_ge_u32 s12, s67
	s_cselect_b32 s4, s13, s4
	s_cselect_b32 s12, s35, s12
	s_add_i32 s13, s4, 1
	s_cmp_ge_u32 s12, s67
	s_cselect_b32 s4, s13, s4
	s_xor_b32 s4, s4, s5
	s_sub_i32 s12, s4, s5
	s_mul_hi_i32 s5, s12, s28
	s_mul_i32 s4, s12, s28
	s_lshl_b64 s[4:5], s[4:5], 1
	s_add_u32 s28, s38, s4
	s_addc_u32 s35, s39, s5
	s_mul_hi_i32 s5, s12, s29
	s_mul_i32 s4, s12, s29
	v_mov_b32_e32 v0, 0x3fb8aa3b
	s_lshl_b64 s[4:5], s[4:5], 1
	v_mul_f32_e32 v102, s47, v0
	v_mov_b32_e32 v0, 0x3f317218
	s_add_u32 s29, s40, s4
	s_mul_hi_i32 s13, s50, s10
	s_mul_i32 s12, s50, s10
	v_mul_f32_e32 v0, s22, v0
	s_addc_u32 s38, s41, s5
	s_lshl_b64 s[12:13], s[12:13], 1
	v_mul_f32_e32 v103, s48, v0
	s_mul_hi_i32 s5, s51, s10
	s_mul_i32 s4, s51, s10
	s_add_u32 s48, s28, s12
	s_addc_u32 s49, s35, s13
	s_lshl_b64 s[4:5], s[4:5], 1
	s_add_u32 s60, s29, s4
	s_mov_b32 s4, 0x7f800000
	s_addc_u32 s61, s38, s5
	v_cmp_neq_f32_e64 s[4:5], |v99|, s4
	v_cmp_lt_i32_e32 vcc, -1, v99
	s_mul_i32 s39, s24, s7
	s_or_b64 vcc, s[4:5], vcc
	v_mul_f32_e32 v1, 0x3fb8aa3b, v99
	v_mov_b32_e32 v104, 0xff800000
	s_mov_b32 s34, 0
	s_mul_i32 s7, s25, s7
	s_add_i32 s39, s39, s68
	v_mov_b32_e32 v0, 0
	v_cndmask_b32_e64 v108, 0, 1.0, vcc
	s_mov_b32 s28, 0xff800000
	v_cndmask_b32_e32 v147, v104, v1, vcc
	s_add_i32 s7, s7, s14
	; sched_barrier mask(0x00000000)
	v_readfirstlane_b32 s12, v91
	v_lshrrev_b32_e32 v2, 2, v5
	v_lshlrev_b32_e32 v1, 1, v5
	v_and_b32_e32 v105, 28, v2
	s_add_i32 s4, s12, s31
	v_lshrrev_b32_e32 v106, 6, v5
	v_and_b32_e32 v90, 30, v1
	v_add_u32_e32 v3, s4, v105
	v_add_lshl_u32 v4, s12, v106, 3
	s_movk_i32 s12, 0x110
	v_mov_b32_e32 v9, 0x1200
	v_mad_u64_u32 v[92:93], s[4:5], v3, s24, v[90:91]
	v_mad_u32_u24 v107, v91, s12, v9
	v_readfirstlane_b32 s4, v107
	;;#ASMSTART
	s_mov_b32 m0, s4
	;;#ASMEND
	s_lshl_b32 s50, s39, 1
	s_mov_b32 s51, 0x20000
	v_lshlrev_b32_e32 v9, 1, v92
	;;#ASMSTART
	buffer_load_dword v9, s[48:51], 0 offen offset:0 lds
	;;#ASMEND
	;;#ASMSTART
	s_add_u32 m0, 0x440, m0
	;;#ASMEND
	s_lshl_b32 s29, s24, 5
	v_add_u32_e32 v9, s29, v9
	;;#ASMSTART
	buffer_load_dword v9, s[48:51], 0 offen offset:0 lds
	;;#ASMEND
	;;#ASMSTART
	s_add_u32 m0, 0x440, m0
	;;#ASMEND
	v_add_u32_e32 v9, s29, v9
	;;#ASMSTART
	buffer_load_dword v9, s[48:51], 0 offen offset:0 lds
	;;#ASMEND
	;;#ASMSTART
	s_add_u32 m0, 0x440, m0
	;;#ASMEND
	v_add_u32_e32 v9, s29, v9
	;;#ASMSTART
	buffer_load_dword v9, s[48:51], 0 offen offset:0 lds
	;;#ASMEND
	v_and_b32_e32 v3, 3, v5
	v_lshlrev_b32_e32 v8, 1, v3
	; sched_barrier mask(0x00000000)
	v_mov_b32_e32 v9, 0x2400
	v_mad_u32_u24 v109, v91, s12, v9
	v_lshrrev_b32_e32 v9, 1, v5
	v_and_b32_e32 v9, 4, v9
	v_bfe_i32 v10, v5, 4, 1
	v_and_b32_e32 v110, 24, v2
	v_and_or_b32 v9, v1, 8, v9
	v_and_b32_e32 v10, 0x220, v10
	v_mul_u32_u24_e32 v3, 0x88, v3
	v_lshlrev_b32_e32 v11, 3, v9
	v_lshlrev_b32_e32 v12, 1, v3
	v_add3_u32 v3, v110, v3, v10
	v_add_lshl_u32 v112, v3, v11, 1
	v_mov_b32_e32 v3, 0x80
	s_ashr_i32 s4, s64, 31
	v_lshl_add_u32 v12, v110, 1, v12
	v_lshlrev_b32_e32 v13, 1, v10
	v_lshlrev_b32_e32 v9, 4, v9
	v_lshl_add_u32 v121, v5, 2, v3
	v_and_b32_e32 v1, 6, v1
	v_and_b32_e32 v3, 4, v5
	s_lshr_b32 s4, s4, 27
	v_add3_u32 v111, v12, v13, v9
	s_add_i32 s35, s64, 0x80
	v_or_b32_e32 v120, 7, v2
	v_bfe_u32 v9, v5, 3, 3
	v_lshl_or_b32 v1, v3, 3, v1
	v_or_b32_e32 v12, 2, v3
	s_add_i32 s64, s64, s4
	v_lshlrev_b32_e32 v15, 3, v2
	v_add_u32_e32 v2, 16, v2
	s_movk_i32 s4, 0x48
	v_lshrrev_b32_e32 v101, 3, v5
	v_lshlrev_b32_e32 v123, 3, v7
	v_lshrrev_b32_e32 v7, 3, v7
	v_lshrrev_b32_e32 v2, 3, v2
	v_mad_u32_u24 v130, v9, s4, v1
	v_sub_u32_e32 v1, v12, v3
	v_mul_u32_u24_e32 v122, 0x408, v6
	v_sub_u32_e32 v2, v2, v6
	v_mul_u32_u24_e32 v6, 0x240, v6
	v_mul_u32_u24_e32 v18, 0x48, v7
	v_and_or_b32 v19, v101, 3, 4
	v_lshlrev_b32_e32 v134, 4, v1
	v_mov_b32_e32 v1, s66
	v_add_co_u32_e32 v80, vcc, s65, v5
	v_mul_u32_u24_e32 v14, 0x408, v7
	v_sub_u32_e32 v7, v19, v7
	v_lshlrev_b32_e32 v19, 1, v18
	v_and_or_b32 v6, v123, 56, v6
	v_addc_co_u32_e32 v81, vcc, 0, v1, vcc
	v_mov_b32_e32 v1, 1
	v_lshl_add_u32 v126, v6, 1, v19
	s_movk_i32 s5, 0x480
	v_and_b32_sdwa v1, v1, s53 dst_sel:DWORD dst_unused:UNUSED_PAD src0_sel:DWORD src1_sel:BYTE_1
	v_mul_i32_i24_e32 v125, 0x408, v2
	v_mad_i32_i24 v128, v2, s5, v126
	v_add_lshl_u32 v6, v6, v18, 1
	v_mul_i32_i24_e32 v2, 0x78, v2
	v_cmp_eq_u32_e64 s[4:5], 1, v1
	v_add3_u32 v1, s31, v4, v8
	v_add3_u32 v132, v125, v2, v6
	v_add_u32_e32 v2, 33, v1
	;;#ASMSTART
	s_waitcnt vmcnt(4)
	;;#ASMEND
	v_or_b32_e32 v10, 1, v3
	v_mul_lo_u32 v2, s25, v2
	s_waitcnt vmcnt(0)
	;;#ASMSTART
	 
	;;#ASMEND
	v_sub_u32_e32 v10, v10, v3
	v_or_b32_e32 v13, 3, v3
	v_and_b32_e32 v124, 7, v5
	v_and_b32_e32 v16, 0xc0, v15
	v_mul_u32_u24_e32 v7, 0x48, v7
	v_lshlrev_b32_e32 v139, 1, v2
	v_add_u32_e32 v2, 32, v1
	s_lshl_b32 s62, s7, 1
	s_min_i32 s38, s6, s17
	v_lshlrev_b32_e32 v11, 3, v10
	v_or_b32_e32 v17, v16, v124
	v_lshlrev_b32_e32 v7, 1, v7
	v_sub_u32_e32 v3, v13, v3
	s_max_i32 s6, s21, 1
	s_movk_i32 s7, 0x3600
	v_mul_lo_u32 v2, s25, v2
	v_mul_lo_u32 v1, s25, v1
	s_mov_b32 s63, s51
	v_add_u32_e32 v113, 32, v112
	v_or_b32_e32 v114, 1, v110
	v_or_b32_e32 v115, 2, v110
	;; [unrolled: 1-line block ×6, first 2 shown]
	s_ashr_i32 s39, s64, 5
	s_mov_b32 s59, s51
	s_movk_i32 s40, 0x240
	v_add_u32_e32 v127, v126, v7
	v_add_u32_e32 v129, v128, v7
	;; [unrolled: 1-line block ×3, first 2 shown]
	v_lshlrev_b32_e32 v133, 4, v10
	v_lshlrev_b32_e32 v135, 4, v3
	s_add_i32 s41, s20, 0xb54cda56
	s_add_u32 s45, s20, 0x9e3779b9
	s_add_u32 s46, s27, 0xbb67ae85
	;; [unrolled: 1-line block ×10, first 2 shown]
	s_add_i32 s69, s27, 0x646e171e
	v_add3_u32 v136, v16, v14, s7
	v_add3_u32 v137, v17, v14, s7
	v_add_u32_e32 v138, s31, v110
	s_lshl_b32 s70, s6, 6
	v_and_b32_e32 v140, 0x78, v15
	s_lshl_b32 s71, s25, 7
	v_lshlrev_b32_e32 v141, 1, v2
	v_add_lshl_u32 v142, v1, s25, 1
	v_lshlrev_b32_e32 v143, 1, v1
	s_mov_b32 s25, 0x1000504
	s_mov_b32 s72, 0x3020706
	v_lshlrev_b32_e32 v144, 1, v11
	s_mov_b32 s73, 0xd2511f53
	s_mov_b32 s74, 0xcd9e8d57
	s_movk_i32 s75, 0xff
	v_mov_b32_e32 v145, 0x7fff
	v_mov_b32_e32 v146, 0x7fff0000
	s_mov_b32 s76, 0x5040100
	s_mov_b32 s77, s31
	v_mov_b32_e32 v1, v0
	v_mov_b32_e32 v2, v0
	;; [unrolled: 1-line block ×31, first 2 shown]
.LBB1_27:                               ; =>This Inner Loop Header: Depth=1
	v_add_u32_e32 v92, 32, v92
	v_readfirstlane_b32 s6, v109
	;;#ASMSTART
	s_mov_b32 m0, s6
	;;#ASMEND
	v_lshlrev_b32_e32 v32, 1, v92
	;;#ASMSTART
	buffer_load_dword v32, s[48:51], 0 offen offset:0 lds
	;;#ASMEND
	;;#ASMSTART
	s_add_u32 m0, 0x440, m0
	;;#ASMEND
	v_add_u32_e32 v32, s29, v32
	;;#ASMSTART
	buffer_load_dword v32, s[48:51], 0 offen offset:0 lds
	;;#ASMEND
	;;#ASMSTART
	s_add_u32 m0, 0x440, m0
	;;#ASMEND
	v_add_u32_e32 v32, s29, v32
	;; [unrolled: 7-line block ×3, first 2 shown]
	;;#ASMSTART
	buffer_load_dword v32, s[48:51], 0 offen offset:0 lds
	;;#ASMEND
	;;#ASMSTART
	s_waitcnt vmcnt(4)
	;;#ASMEND
	s_barrier
	; sched_barrier mask(0x00000000)
	ds_read_b128 v[32:35], v111 offset:4608
	ds_read_b128 v[82:85], v111 offset:4640
	;; [unrolled: 1-line block ×4, first 2 shown]
	s_waitcnt lgkmcnt(3)
	v_mfma_f32_32x32x8bf16_1k v[48:63], v[32:33], v[68:69], 0
	v_mfma_f32_32x32x8bf16_1k v[48:63], v[34:35], v[70:71], v[48:63]
	s_waitcnt lgkmcnt(1)
	v_mfma_f32_32x32x8bf16_1k v[32:47], v[86:87], v[68:69], 0
	v_mfma_f32_32x32x8bf16_1k v[32:47], v[88:89], v[70:71], v[32:47]
	;; [unrolled: 1-line block ×3, first 2 shown]
	s_waitcnt lgkmcnt(0)
	v_mfma_f32_32x32x8bf16_1k v[32:47], v[94:95], v[64:65], v[32:47]
	v_mfma_f32_32x32x8bf16_1k v[48:63], v[84:85], v[66:67], v[48:63]
	;; [unrolled: 1-line block ×3, first 2 shown]
	; sched_barrier mask(0x00000000)
	v_add_u32_e32 v82, v143, v140
	;;#ASMSTART
	s_waitcnt vmcnt(0)
	;;#ASMEND
	s_barrier
	v_add_u32_e32 v83, v142, v140
	buffer_load_dwordx2 v[94:95], v82, s[60:63], 0 offen
	buffer_load_dwordx2 v[96:97], v83, s[60:63], 0 offen
	; sched_barrier mask(0x00000000)
	ds_read_b128 v[82:85], v112 offset:9216
	ds_read_b128 v[86:89], v112 offset:11392
	s_add_i32 s78, s77, 64
	s_cmp_gt_i32 s78, s38
	s_cselect_b64 s[6:7], -1, 0
	s_waitcnt lgkmcnt(1)
	v_mfma_f32_32x32x8bf16_1k v[48:63], v[82:83], v[72:73], v[48:63]
	s_add_i32 s12, s77, s23
	s_min_i32 s12, s12, s16
	s_cmp_gt_i32 s35, s12
	s_cselect_b64 s[12:13], -1, 0
	s_or_b64 s[6:7], s[6:7], s[12:13]
	s_andn2_b64 vcc, exec, s[6:7]
	s_waitcnt lgkmcnt(0)
	v_mfma_f32_32x32x8bf16_1k v[32:47], v[86:87], v[72:73], v[32:47]
	v_mfma_f32_32x32x8bf16_1k v[48:63], v[84:85], v[74:75], v[48:63]
	ds_read_b128 v[148:151], v113 offset:9216
	ds_read_b128 v[82:85], v112 offset:11424
	; sched_barrier mask(0x00000001)
	v_mfma_f32_32x32x8bf16_1k v[32:47], v[88:89], v[74:75], v[32:47]
	s_waitcnt lgkmcnt(1)
	v_mfma_f32_32x32x8bf16_1k v[48:63], v[148:149], v[76:77], v[48:63]
	s_waitcnt lgkmcnt(0)
	v_mfma_f32_32x32x8bf16_1k v[32:47], v[82:83], v[76:77], v[32:47]
	v_mfma_f32_32x32x8bf16_1k v[48:63], v[150:151], v[78:79], v[48:63]
	;; [unrolled: 1-line block ×3, first 2 shown]
	s_nop 7
	s_nop 7
	;; [unrolled: 1-line block ×3, first 2 shown]
	v_mul_f32_e32 v63, v103, v63
	v_mul_f32_e32 v63, 0x4038aa3b, v63
	v_exp_f32_e32 v63, v63
	v_mul_f32_e32 v50, v103, v50
	v_mul_f32_e32 v56, v103, v56
	;; [unrolled: 1-line block ×3, first 2 shown]
	v_add_f32_e32 v63, 1.0, v63
	v_rcp_f32_e32 v63, v63
	v_mul_f32_e32 v50, 0x4038aa3b, v50
	v_mul_f32_e32 v56, 0x4038aa3b, v56
	;; [unrolled: 1-line block ×3, first 2 shown]
	v_fma_f32 v63, v63, -2.0, 1.0
	v_mul_f32_e32 v82, v102, v63
	v_exp_f32_e32 v50, v50
	v_exp_f32_e32 v56, v56
	v_mul_f32_e32 v32, v103, v32
	v_mul_f32_e32 v32, 0x4038aa3b, v32
	v_exp_f32_e32 v32, v32
	v_mul_f32_e32 v33, v103, v33
	v_mul_f32_e32 v33, 0x4038aa3b, v33
	v_exp_f32_e32 v33, v33
	v_add_f32_e32 v32, 1.0, v32
	v_rcp_f32_e32 v32, v32
	v_exp_f32_e32 v58, v58
	v_mul_f32_e32 v59, v103, v59
	v_mul_f32_e32 v60, v103, v60
	v_fma_f32 v32, v32, -2.0, 1.0
	v_mul_f32_e32 v63, v102, v32
	v_add_f32_e32 v32, 1.0, v33
	v_mul_f32_e32 v33, v103, v34
	v_mul_f32_e32 v33, 0x4038aa3b, v33
	v_mul_f32_e32 v34, v103, v35
	v_exp_f32_e32 v33, v33
	v_mul_f32_e32 v34, 0x4038aa3b, v34
	v_exp_f32_e32 v34, v34
	v_rcp_f32_e32 v32, v32
	v_add_f32_e32 v33, 1.0, v33
	v_rcp_f32_e32 v33, v33
	v_add_f32_e32 v34, 1.0, v34
	v_rcp_f32_e32 v34, v34
	v_fma_f32 v32, v32, -2.0, 1.0
	v_mul_f32_e32 v84, v102, v32
	v_fma_f32 v32, v33, -2.0, 1.0
	v_mul_f32_e32 v83, v102, v32
	v_fma_f32 v32, v34, -2.0, 1.0
	v_mul_f32_e32 v33, v103, v36
	v_mul_f32_e32 v34, v103, v37
	v_mul_f32_e32 v33, 0x4038aa3b, v33
	;; [unrolled: 1-line block ×3, first 2 shown]
	v_exp_f32_e32 v33, v33
	v_exp_f32_e32 v34, v34
	v_mul_f32_e32 v36, v102, v32
	v_mul_f32_e32 v48, v103, v48
	v_add_f32_e32 v32, 1.0, v33
	v_add_f32_e32 v33, 1.0, v34
	v_mul_f32_e32 v34, v103, v38
	v_rcp_f32_e32 v32, v32
	v_mul_f32_e32 v34, 0x4038aa3b, v34
	v_rcp_f32_e32 v33, v33
	v_exp_f32_e32 v34, v34
	v_fma_f32 v32, v32, -2.0, 1.0
	v_mul_f32_e32 v37, v102, v32
	v_fma_f32 v32, v33, -2.0, 1.0
	v_add_f32_e32 v33, 1.0, v34
	v_mul_f32_e32 v34, v103, v39
	v_rcp_f32_e32 v33, v33
	v_mul_f32_e32 v34, 0x4038aa3b, v34
	v_exp_f32_e32 v34, v34
	v_mul_f32_e32 v39, v102, v32
	v_fma_f32 v32, v33, -2.0, 1.0
	v_mul_f32_e32 v33, v103, v40
	v_mul_f32_e32 v38, v102, v32
	v_add_f32_e32 v32, 1.0, v34
	v_mul_f32_e32 v33, 0x4038aa3b, v33
	v_mul_f32_e32 v34, v103, v41
	v_exp_f32_e32 v33, v33
	v_mul_f32_e32 v34, 0x4038aa3b, v34
	v_exp_f32_e32 v34, v34
	v_rcp_f32_e32 v32, v32
	v_add_f32_e32 v33, 1.0, v33
	v_rcp_f32_e32 v33, v33
	v_add_f32_e32 v34, 1.0, v34
	v_rcp_f32_e32 v34, v34
	v_fma_f32 v32, v32, -2.0, 1.0
	v_mul_f32_e32 v41, v102, v32
	v_fma_f32 v32, v33, -2.0, 1.0
	v_mul_f32_e32 v40, v102, v32
	;; [unrolled: 2-line block ×3, first 2 shown]
	v_mul_f32_e32 v34, v103, v43
	v_mul_f32_e32 v33, 0x4038aa3b, v33
	;; [unrolled: 1-line block ×3, first 2 shown]
	v_exp_f32_e32 v33, v33
	v_exp_f32_e32 v34, v34
	v_mul_f32_e32 v42, v102, v32
	v_mul_f32_e32 v49, v103, v49
	v_add_f32_e32 v32, 1.0, v33
	v_add_f32_e32 v33, 1.0, v34
	v_mul_f32_e32 v34, v103, v44
	v_rcp_f32_e32 v32, v32
	v_mul_f32_e32 v34, 0x4038aa3b, v34
	v_rcp_f32_e32 v33, v33
	v_exp_f32_e32 v34, v34
	v_fma_f32 v32, v32, -2.0, 1.0
	v_mul_f32_e32 v43, v102, v32
	v_fma_f32 v32, v33, -2.0, 1.0
	v_add_f32_e32 v33, 1.0, v34
	v_mul_f32_e32 v34, v103, v45
	v_rcp_f32_e32 v33, v33
	v_mul_f32_e32 v34, 0x4038aa3b, v34
	v_exp_f32_e32 v34, v34
	v_mul_f32_e32 v44, v102, v32
	v_fma_f32 v32, v33, -2.0, 1.0
	v_mul_f32_e32 v33, v103, v46
	v_mul_f32_e32 v51, v103, v51
	;; [unrolled: 1-line block ×8, first 2 shown]
	v_add_f32_e32 v50, 1.0, v50
	v_mul_f32_e32 v60, 0x4038aa3b, v60
	v_mul_f32_e32 v61, v103, v61
	;; [unrolled: 1-line block ×4, first 2 shown]
	v_add_f32_e32 v32, 1.0, v34
	v_mul_f32_e32 v33, 0x4038aa3b, v33
	v_mul_f32_e32 v34, v103, v47
	;; [unrolled: 1-line block ×10, first 2 shown]
	v_add_f32_e32 v56, 1.0, v56
	v_add_f32_e32 v58, 1.0, v58
	v_rcp_f32_e32 v50, v50
	v_exp_f32_e32 v59, v59
	v_exp_f32_e32 v60, v60
	v_mul_f32_e32 v61, 0x4038aa3b, v61
	v_mul_f32_e32 v62, 0x4038aa3b, v62
	v_exp_f32_e32 v33, v33
	v_mul_f32_e32 v34, 0x4038aa3b, v34
	v_exp_f32_e32 v48, v48
	v_exp_f32_e32 v49, v49
	v_exp_f32_e32 v51, v51
	v_exp_f32_e32 v52, v52
	v_exp_f32_e32 v53, v53
	v_exp_f32_e32 v54, v54
	v_exp_f32_e32 v55, v55
	v_exp_f32_e32 v57, v57
	v_rcp_f32_e32 v56, v56
	v_rcp_f32_e32 v86, v58
	v_exp_f32_e32 v61, v61
	v_exp_f32_e32 v62, v62
	;; [unrolled: 1-line block ×3, first 2 shown]
	v_fma_f32 v50, v50, -2.0, 1.0
	v_add_f32_e32 v59, 1.0, v59
	v_add_f32_e32 v60, 1.0, v60
	v_rcp_f32_e32 v32, v32
	v_add_f32_e32 v33, 1.0, v33
	v_add_f32_e32 v48, 1.0, v48
	;; [unrolled: 1-line block ×9, first 2 shown]
	v_fma_f32 v148, v56, -2.0, 1.0
	v_mul_f32_e32 v56, v102, v50
	v_fma_f32 v50, v86, -2.0, 1.0
	v_rcp_f32_e32 v59, v59
	v_rcp_f32_e32 v86, v60
	v_add_f32_e32 v60, 1.0, v61
	v_add_f32_e32 v62, 1.0, v62
	v_rcp_f32_e32 v33, v33
	v_add_f32_e32 v34, 1.0, v34
	v_rcp_f32_e32 v48, v48
	v_rcp_f32_e32 v49, v49
	;; [unrolled: 1-line block ×11, first 2 shown]
	v_fma_f32 v32, v32, -2.0, 1.0
	v_fma_f32 v59, v59, -2.0, 1.0
	v_mul_f32_e32 v47, v102, v32
	v_fma_f32 v32, v33, -2.0, 1.0
	v_fma_f32 v48, v48, -2.0, 1.0
	;; [unrolled: 1-line block ×9, first 2 shown]
	v_mul_f32_e32 v60, v102, v59
	v_fma_f32 v59, v86, -2.0, 1.0
	v_fma_f32 v61, v61, -2.0, 1.0
	;; [unrolled: 1-line block ×3, first 2 shown]
	v_mul_f32_e32 v85, v102, v32
	v_fma_f32 v32, v34, -2.0, 1.0
	v_mul_f32_e32 v58, v102, v48
	v_mul_f32_e32 v57, v102, v49
	;; [unrolled: 1-line block ×14, first 2 shown]
	s_cbranch_vccnz .LBB1_29
; %bb.28:                               ;   in Loop: Header=BB1_27 Depth=1
	v_readfirstlane_b32 s6, v91
	v_lshl_add_u32 v32, s6, 5, v98
	v_add_u32_e32 v35, s18, v32
	v_add_u32_e32 v33, s77, v110
	v_min_i32_e32 v35, s17, v35
	v_subrev_u32_e32 v34, s23, v32
	v_cmp_gt_i32_e64 s[12:13], v35, v33
	v_cmp_gt_i32_e32 vcc, s16, v32
	v_cmp_lt_i32_e64 s[6:7], v34, v33
	s_and_b64 s[12:13], s[12:13], vcc
	v_add_u32_e32 v32, s77, v114
	s_and_b64 s[6:7], s[12:13], s[6:7]
	v_cmp_gt_i32_e64 s[12:13], v35, v32
	v_cndmask_b32_e64 v58, v104, v58, s[6:7]
	v_cmp_lt_i32_e64 s[6:7], v34, v32
	s_and_b64 s[12:13], s[12:13], vcc
	v_add_u32_e32 v32, s77, v115
	s_and_b64 s[6:7], s[12:13], s[6:7]
	v_cmp_gt_i32_e64 s[12:13], v35, v32
	v_cndmask_b32_e64 v57, v104, v57, s[6:7]
	;; [unrolled: 6-line block ×31, first 2 shown]
	v_cmp_lt_i32_e64 s[6:7], v34, v32
	s_and_b64 s[12:13], s[12:13], vcc
	s_and_b64 vcc, s[12:13], s[6:7]
	v_cndmask_b32_e32 v86, v104, v86, vcc
.LBB1_29:                               ;   in Loop: Header=BB1_27 Depth=1
	v_add_u32_e32 v32, v141, v140
	v_add_u32_e32 v34, v139, v140
	buffer_load_dwordx2 v[32:33], v32, s[60:63], 0 offen
	s_nop 0
	buffer_load_dwordx2 v[34:35], v34, s[60:63], 0 offen
	v_max3_f32 v46, v58, s28, v57
	v_max3_f32 v46, v46, v56, v55
	;; [unrolled: 1-line block ×16, first 2 shown]
	v_readfirstlane_b32 s6, v91
	ds_bpermute_b32 v87, v121, v46
	s_waitcnt vmcnt(2)
	v_perm_b32 v88, v94, v96, s25
	v_perm_b32 v89, v94, v96, s72
	;; [unrolled: 1-line block ×4, first 2 shown]
	v_add_u32_e32 v95, s6, v106
	v_mul_lo_u32 v95, v95, s40
	v_add_lshl_u32 v95, v130, v95, 1
	; sched_barrier mask(0x0000007F)
	ds_write_b32 v95, v88 offset:4608
	v_add_u32_e32 v88, v95, v144
	ds_write_b32 v88, v89 offset:4608
	v_add_u32_e32 v88, v88, v144
	;; [unrolled: 2-line block ×3, first 2 shown]
	s_waitcnt lgkmcnt(3)
	v_max3_f32 v46, v147, v46, v87
	ds_write_b32 v88, v94 offset:4608
	; sched_barrier mask(0x00000000)
	v_cmp_neq_f32_e32 vcc, s28, v46
	v_cndmask_b32_e32 v87, 0, v46, vcc
	v_sub_f32_e32 v48, v48, v87
	v_exp_f32_e32 v97, v48
	v_sub_f32_e32 v48, v50, v87
	v_exp_f32_e32 v96, v48
	v_sub_f32_e32 v48, v60, v87
	v_exp_f32_e32 v95, v48
	v_sub_f32_e32 v48, v59, v87
	v_sub_f32_e32 v55, v55, v87
	v_exp_f32_e32 v94, v48
	v_sub_f32_e32 v48, v61, v87
	v_sub_f32_e32 v36, v36, v87
	v_exp_f32_e32 v153, v55
	v_exp_f32_e32 v93, v48
	v_sub_f32_e32 v48, v62, v87
	v_exp_f32_e32 v55, v36
	v_sub_f32_e32 v36, v37, v87
	;; [unrolled: 2-line block ×9, first 2 shown]
	v_sub_f32_e32 v58, v58, v87
	v_exp_f32_e32 v59, v36
	v_sub_f32_e32 v36, v43, v87
	v_exp_f32_e32 v156, v58
	;; [unrolled: 2-line block ×7, first 2 shown]
	v_sub_f32_e32 v36, v47, v87
	v_sub_f32_e32 v54, v54, v87
	v_exp_f32_e32 v148, v49
	v_exp_f32_e32 v49, v36
	v_sub_f32_e32 v36, v85, v87
	v_exp_f32_e32 v152, v54
	v_sub_f32_e32 v53, v53, v87
	v_sub_f32_e32 v51, v51, v87
	v_exp_f32_e32 v50, v36
	v_sub_f32_e32 v36, v86, v87
	v_exp_f32_e32 v151, v53
	;; [unrolled: 2-line block ×3, first 2 shown]
	v_exp_f32_e32 v51, v36
	v_add_f32_e32 v36, v156, v155
	v_exp_f32_e32 v150, v52
	v_add_f32_e32 v36, v154, v36
	v_add_f32_e32 v36, v153, v36
	;; [unrolled: 1-line block ×10, first 2 shown]
	v_exp_f32_e32 v52, v48
	v_sub_f32_e32 v48, v84, v87
	v_add_f32_e32 v36, v94, v36
	v_exp_f32_e32 v53, v48
	v_sub_f32_e32 v48, v83, v87
	v_add_f32_e32 v36, v93, v36
	v_exp_f32_e32 v54, v48
	v_add_f32_e32 v36, v89, v36
	v_add_f32_e32 v36, v88, v36
	;; [unrolled: 1-line block ×15, first 2 shown]
	s_add_i32 s7, s31, s34
	v_add_f32_e32 v36, v49, v36
	s_lshl_b32 s79, s6, 8
	s_add_i32 s13, s6, s39
	s_ashr_i32 s12, s7, 5
	v_mad_u64_u32 v[40:41], s[6:7], v80, s73, 0
	v_add_f32_e32 v36, v50, v36
	s_mul_hi_u32 s6, s13, 0xcd9e8d57
	v_add_f32_e32 v47, v51, v36
	v_or_b32_e32 v36, s79, v123
	s_xor_b32 s6, s20, s6
	v_add_u32_e32 v83, v36, v122
	v_xor_b32_e32 v36, s6, v81
	s_xor_b32 s6, s27, s12
	v_xor_b32_e32 v37, s6, v41
	v_mad_u64_u32 v[42:43], s[6:7], v36, s73, 0
	s_mul_i32 s13, s13, 0xcd9e8d57
	v_xor_b32_e32 v38, s46, v43
	v_mad_u64_u32 v[36:37], s[6:7], v37, s74, 0
	s_xor_b32 s13, s13, s45
	v_xor_b32_e32 v40, v38, v40
	v_xor_b32_e32 v37, s13, v37
	v_mad_u64_u32 v[44:45], s[6:7], v40, s74, 0
	v_mad_u64_u32 v[38:39], s[6:7], v37, s73, 0
	v_xor_b32_e32 v40, s47, v45
	v_xor_b32_e32 v36, v40, v36
	v_xor_b32_e32 v37, s54, v39
	v_xor_b32_e32 v39, v37, v42
	v_mad_u64_u32 v[36:37], s[6:7], v36, s73, 0
	v_mad_u64_u32 v[84:85], s[6:7], v39, s74, 0
	v_xor_b32_e32 v37, s64, v37
	v_xor_b32_e32 v39, s55, v85
	;; [unrolled: 6-line block ×5, first 2 shown]
	v_xor_b32_e32 v36, v39, v36
	v_or_b32_e32 v160, s79, v124
	v_xor_b32_e32 v36, s69, v36
	v_lshrrev_b32_e32 v39, 8, v37
	v_lshrrev_b32_e32 v43, 24, v37
	v_add_u32_e32 v160, v136, v160
	ds_bpermute_b32 v48, v121, v47
	v_lshrrev_b32_e32 v45, 8, v158
	v_lshrrev_b32_e32 v84, 24, v158
	;; [unrolled: 1-line block ×6, first 2 shown]
	ds_write_b8 v160, v37
	ds_write_b8 v160, v39 offset:8
	ds_write_b8_d16_hi v160, v37 offset:16
	ds_write_b8 v160, v43 offset:24
	ds_write_b8 v160, v158 offset:32
	ds_write_b8 v160, v45 offset:40
	ds_write_b8_d16_hi v160, v158 offset:48
	ds_write_b8 v160, v84 offset:56
	ds_write_b8 v160, v36 offset:128
	;; [unrolled: 4-line block ×3, first 2 shown]
	ds_write_b8 v160, v157 offset:168
	ds_write_b8_d16_hi v160, v38 offset:176
	ds_write_b8 v160, v159 offset:184
	s_waitcnt lgkmcnt(0)
	s_barrier
	v_add_u32_e32 v43, v125, v83
	ds_read_b64 v[36:37], v83 offset:13824
	ds_read_b64 v[38:39], v43 offset:13824
	v_cndmask_b32_e64 v45, 0, 1, s[4:5]
	v_cmp_ne_u32_e64 s[6:7], 1, v45
	s_andn2_b64 vcc, exec, s[4:5]
	s_waitcnt lgkmcnt(0)
	s_barrier
	s_cbranch_vccnz .LBB1_31
; %bb.30:                               ;   in Loop: Header=BB1_27 Depth=1
	v_readfirstlane_b32 s79, v91
	v_lshl_add_u32 v45, s79, 5, v98
	v_cmp_le_i32_e32 vcc, s16, v45
	v_mul_lo_u32 v84, v45, s44
	v_cndmask_b32_e64 v45, 0, 1, vcc
	v_lshl_add_u32 v45, v45, 31, v84
	v_add3_u32 v45, v138, s34, v45
	buffer_store_dwordx2 v[36:37], v45, s[56:59], 0 offen
	buffer_store_dwordx2 v[38:39], v45, s[56:59], 0 offen offset:16
.LBB1_31:                               ;   in Loop: Header=BB1_27 Depth=1
	s_or_b32 s12, s12, 1
	s_xor_b32 s12, s27, s12
	v_xor_b32_e32 v41, s12, v41
	v_mad_u64_u32 v[84:85], s[80:81], v41, s74, 0
	v_xor_b32_e32 v41, s13, v85
	v_mad_u64_u32 v[158:159], s[12:13], v41, s73, 0
	v_xor_b32_e32 v40, v40, v84
	v_xor_b32_e32 v41, s54, v159
	v_xor_b32_e32 v42, v41, v42
	v_mad_u64_u32 v[40:41], s[12:13], v40, s73, 0
	v_mad_u64_u32 v[84:85], s[12:13], v42, s74, 0
	v_xor_b32_e32 v41, s64, v41
	v_xor_b32_e32 v42, s55, v85
	v_xor_b32_e32 v41, v41, v158
	v_xor_b32_e32 v42, v42, v44
	v_mad_u64_u32 v[158:159], s[12:13], v41, s74, 0
	v_mad_u64_u32 v[44:45], s[12:13], v42, s73, 0
	v_xor_b32_e32 v41, s65, v159
	;; [unrolled: 6-line block ×4, first 2 shown]
	v_xor_b32_e32 v41, s41, v41
	v_xor_b32_e32 v40, v45, v40
	v_readfirstlane_b32 s12, v91
	v_xor_b32_e32 v40, s69, v40
	v_lshrrev_b32_e32 v42, 8, v41
	v_lshl_add_u32 v161, s12, 8, v137
	v_lshrrev_b32_e32 v45, 24, v41
	v_lshrrev_b32_e32 v84, 8, v158
	;; [unrolled: 1-line block ×7, first 2 shown]
	ds_write_b8 v161, v41
	ds_write_b8 v161, v42 offset:8
	ds_write_b8_d16_hi v161, v41 offset:16
	ds_write_b8 v161, v45 offset:24
	ds_write_b8 v161, v158 offset:32
	ds_write_b8 v161, v84 offset:40
	ds_write_b8_d16_hi v161, v158 offset:48
	ds_write_b8 v161, v85 offset:56
	ds_write_b8 v161, v40 offset:128
	;; [unrolled: 4-line block ×3, first 2 shown]
	ds_write_b8 v161, v159 offset:168
	ds_write_b8_d16_hi v161, v44 offset:176
	ds_write_b8 v161, v160 offset:184
	s_waitcnt lgkmcnt(0)
	s_barrier
	ds_read_b64 v[40:41], v83 offset:13824
	ds_read_b64 v[42:43], v43 offset:13824
	s_and_b64 vcc, exec, s[6:7]
	s_waitcnt lgkmcnt(0)
	s_barrier
	s_cbranch_vccnz .LBB1_33
; %bb.32:                               ;   in Loop: Header=BB1_27 Depth=1
	v_readfirstlane_b32 s6, v91
	v_lshl_add_u32 v44, s6, 5, v98
	v_cmp_le_i32_e32 vcc, s16, v44
	v_mul_lo_u32 v45, v44, s44
	v_cndmask_b32_e64 v44, 0, 1, vcc
	v_lshl_add_u32 v44, v44, 31, v45
	v_add3_u32 v44, v138, s34, v44
	buffer_store_dwordx2 v[40:41], v44, s[56:59], 0 offen offset:32
	buffer_store_dwordx2 v[42:43], v44, s[56:59], 0 offen offset:48
.LBB1_33:                               ;   in Loop: Header=BB1_27 Depth=1
	v_and_b32_e32 v44, 0xff, v36
	v_lshrrev_b32_e32 v161, 24, v36
	v_and_b32_sdwa v162, v36, s75 dst_sel:DWORD dst_unused:UNUSED_PAD src0_sel:WORD_1 src1_sel:DWORD
	v_lshrrev_b32_e32 v36, 8, v36
	v_and_b32_e32 v36, 0xff, v36
	v_mul_f32_e32 v156, s52, v156
	v_cmp_ge_u16_sdwa vcc, s53, v44 src0_sel:BYTE_0 src1_sel:DWORD
	v_cndmask_b32_e32 v156, 0, v156, vcc
	v_mul_f32_e32 v44, s52, v155
	v_cmp_ge_u16_sdwa vcc, s53, v36 src0_sel:BYTE_0 src1_sel:DWORD
	v_cndmask_b32_e32 v155, 0, v44, vcc
	v_mul_f32_e32 v36, s52, v154
	v_cmp_ge_u16_sdwa vcc, s53, v162 src0_sel:BYTE_0 src1_sel:DWORD
	v_and_b32_e32 v45, 0xff, v37
	v_lshrrev_b32_e32 v159, 24, v37
	v_and_b32_sdwa v160, v37, s75 dst_sel:DWORD dst_unused:UNUSED_PAD src0_sel:WORD_1 src1_sel:DWORD
	v_lshrrev_b32_e32 v37, 8, v37
	v_cndmask_b32_e32 v154, 0, v36, vcc
	v_mul_f32_e32 v36, s52, v153
	v_cmp_ge_u16_sdwa vcc, s53, v161 src0_sel:BYTE_0 src1_sel:DWORD
	v_and_b32_e32 v37, 0xff, v37
	v_cndmask_b32_e32 v153, 0, v36, vcc
	v_mul_f32_e32 v36, s52, v152
	v_cmp_ge_u16_sdwa vcc, s53, v45 src0_sel:BYTE_0 src1_sel:DWORD
	v_cndmask_b32_e32 v152, 0, v36, vcc
	v_mul_f32_e32 v36, s52, v151
	v_cmp_ge_u16_sdwa vcc, s53, v37 src0_sel:BYTE_0 src1_sel:DWORD
	v_cndmask_b32_e32 v151, 0, v36, vcc
	v_mul_f32_e32 v36, s52, v150
	v_cmp_ge_u16_sdwa vcc, s53, v160 src0_sel:BYTE_0 src1_sel:DWORD
	v_and_b32_e32 v83, 0xff, v38
	v_lshrrev_b32_e32 v157, 24, v38
	v_and_b32_sdwa v158, v38, s75 dst_sel:DWORD dst_unused:UNUSED_PAD src0_sel:WORD_1 src1_sel:DWORD
	v_lshrrev_b32_e32 v38, 8, v38
	v_cndmask_b32_e32 v150, 0, v36, vcc
	v_mul_f32_e32 v36, s52, v149
	v_cmp_ge_u16_sdwa vcc, s53, v159 src0_sel:BYTE_0 src1_sel:DWORD
	v_and_b32_e32 v38, 0xff, v38
	v_cndmask_b32_e32 v149, 0, v36, vcc
	;; [unrolled: 17-line block ×3, first 2 shown]
	v_mul_f32_e32 v36, s52, v94
	v_cmp_ge_u16_sdwa vcc, s53, v84 src0_sel:BYTE_0 src1_sel:DWORD
	v_cndmask_b32_e32 v84, 0, v36, vcc
	v_mul_f32_e32 v36, s52, v93
	v_cmp_ge_u16_sdwa vcc, s53, v39 src0_sel:BYTE_0 src1_sel:DWORD
	v_cndmask_b32_e32 v93, 0, v36, vcc
	v_mul_f32_e32 v36, s52, v89
	v_cmp_ge_u16_sdwa vcc, s53, v86 src0_sel:BYTE_0 src1_sel:DWORD
	v_lshrrev_b32_e32 v37, 8, v43
	v_cndmask_b32_e32 v86, 0, v36, vcc
	v_mul_f32_e32 v36, s52, v88
	v_and_b32_e32 v88, 0xff, v37
	v_lshrrev_b32_e32 v37, 8, v42
	v_cmp_ge_u16_sdwa vcc, s53, v85 src0_sel:BYTE_0 src1_sel:DWORD
	v_and_b32_e32 v89, 0xff, v37
	v_lshrrev_b32_e32 v37, 8, v41
	v_cndmask_b32_e32 v85, 0, v36, vcc
	v_sub_f32_e32 v36, v147, v87
	v_lshrrev_b32_e32 v83, 24, v43
	v_and_b32_sdwa v87, v43, s75 dst_sel:DWORD dst_unused:UNUSED_PAD src0_sel:WORD_1 src1_sel:DWORD
	v_and_b32_e32 v44, 0xff, v43
	v_lshrrev_b32_e32 v45, 24, v42
	v_and_b32_sdwa v43, v42, s75 dst_sel:DWORD dst_unused:UNUSED_PAD src0_sel:WORD_1 src1_sel:DWORD
	v_and_b32_e32 v39, 0xff, v42
	v_lshrrev_b32_e32 v42, 24, v41
	v_and_b32_sdwa v94, v41, s75 dst_sel:DWORD dst_unused:UNUSED_PAD src0_sel:WORD_1 src1_sel:DWORD
	v_and_b32_e32 v38, 0xff, v37
	v_and_b32_e32 v37, 0xff, v41
	v_lshrrev_b32_e32 v41, 24, v40
	v_and_b32_sdwa v147, v40, s75 dst_sel:DWORD dst_unused:UNUSED_PAD src0_sel:WORD_1 src1_sel:DWORD
	v_lshrrev_b32_e32 v157, 8, v40
	v_and_b32_e32 v40, 0xff, v40
	v_and_b32_e32 v157, 0xff, v157
	v_mul_f32_e32 v52, s52, v52
	v_cmp_ge_u16_sdwa vcc, s53, v40 src0_sel:BYTE_0 src1_sel:DWORD
	v_cndmask_b32_e32 v52, 0, v52, vcc
	v_mul_f32_e32 v40, s52, v53
	v_cmp_ge_u16_sdwa vcc, s53, v157 src0_sel:BYTE_0 src1_sel:DWORD
	v_cndmask_b32_e32 v53, 0, v40, vcc
	;; [unrolled: 3-line block ×16, first 2 shown]
	;;#ASMSTART
	
             v_cmp_u_f32 s[6:7], v156, v156 
             v_bfe_u32 v56, v156, 16, 1 
             v_add3_u32 v56, v156, v56, v145 
             v_cndmask_b32 v156, v56, v146, s[6:7] 
             v_lshrrev_b32 v156, 16, v156 
             
	;;#ASMEND
	;;#ASMSTART
	
             v_cmp_u_f32 s[6:7], v155, v155 
             v_bfe_u32 v56, v155, 16, 1 
             v_add3_u32 v56, v155, v56, v145 
             v_cndmask_b32 v155, v56, v146, s[6:7] 
             v_lshrrev_b32 v155, 16, v155 
             
	;;#ASMEND
	;; [unrolled: 9-line block ×32, first 2 shown]
	s_waitcnt lgkmcnt(0)
	s_barrier
	ds_read_b128 v[56:59], v126 offset:4608
	ds_read_b128 v[60:63], v127 offset:4608
	v_exp_f32_e32 v36, v36
	v_perm_b32 v82, v155, v156, s76
	v_perm_b32 v83, v153, v154, s76
	v_readfirstlane_b32 s6, v91
	v_pk_mul_f32 v[30:31], v[30:31], v[36:37] op_sel_hi:[1,0]
	v_pk_mul_f32 v[28:29], v[28:29], v[36:37] op_sel_hi:[1,0]
	;; [unrolled: 1-line block ×16, first 2 shown]
	s_waitcnt lgkmcnt(1)
	v_mfma_f32_32x32x8bf16_1k v[16:31], v[56:57], v[82:83], v[16:31]
	v_perm_b32 v56, v151, v152, s76
	v_perm_b32 v57, v149, v150, s76
	s_cmp_ge_i32 s15, s21
	s_waitcnt lgkmcnt(0)
	v_mfma_f32_32x32x8bf16_1k v[0:15], v[60:61], v[82:83], v[0:15]
	v_perm_b32 v82, v97, v148, s76
	v_perm_b32 v83, v95, v96, s76
	v_mfma_f32_32x32x8bf16_1k v[16:31], v[58:59], v[56:57], v[16:31]
	v_mfma_f32_32x32x8bf16_1k v[0:15], v[62:63], v[56:57], v[0:15]
	ds_read_b128 v[56:59], v128 offset:4608
	ds_read_b128 v[60:63], v129 offset:4608
	s_waitcnt lgkmcnt(1)
	v_mfma_f32_32x32x8bf16_1k v[16:31], v[56:57], v[82:83], v[16:31]
	v_perm_b32 v56, v93, v84, s76
	v_perm_b32 v57, v85, v86, s76
	s_waitcnt lgkmcnt(0)
	v_mfma_f32_32x32x8bf16_1k v[0:15], v[60:61], v[82:83], v[0:15]
	v_mfma_f32_32x32x8bf16_1k v[16:31], v[58:59], v[56:57], v[16:31]
	;; [unrolled: 1-line block ×3, first 2 shown]
	s_waitcnt vmcnt(0)
	v_perm_b32 v56, v32, v34, s25
	v_perm_b32 v32, v32, v34, s72
	;; [unrolled: 1-line block ×4, first 2 shown]
	v_add_u32_e32 v35, s6, v106
	v_mul_lo_u32 v35, v35, s40
	v_add_lshl_u32 v35, v130, v35, 1
	ds_write_b32 v35, v56
	v_add_u32_e32 v56, v133, v35
	ds_write_b32 v56, v32
	v_add_u32_e32 v32, v134, v35
	ds_write_b32 v32, v34
	v_add_u32_e32 v32, v135, v35
	ds_write_b32 v32, v33
	s_cbranch_scc1 .LBB1_35
; %bb.34:                               ;   in Loop: Header=BB1_27 Depth=1
	v_readfirstlane_b32 s6, v91
	s_add_i32 s6, s6, s78
	v_add_u32_e32 v32, s6, v105
	v_mad_u64_u32 v[92:93], s[6:7], v32, s24, v[90:91]
	s_barrier
	v_readfirstlane_b32 s6, v107
	;;#ASMSTART
	s_mov_b32 m0, s6
	;;#ASMEND
	v_lshlrev_b32_e32 v32, 1, v92
	;;#ASMSTART
	buffer_load_dword v32, s[48:51], 0 offen offset:0 lds
	;;#ASMEND
	;;#ASMSTART
	s_add_u32 m0, 0x440, m0
	;;#ASMEND
	v_add_u32_e32 v32, s29, v32
	;;#ASMSTART
	buffer_load_dword v32, s[48:51], 0 offen offset:0 lds
	;;#ASMEND
	;;#ASMSTART
	s_add_u32 m0, 0x440, m0
	;;#ASMEND
	v_add_u32_e32 v32, s29, v32
	;; [unrolled: 7-line block ×3, first 2 shown]
	;;#ASMSTART
	buffer_load_dword v32, s[48:51], 0 offen offset:0 lds
	;;#ASMEND
	s_mov_b32 s77, s78
.LBB1_35:                               ;   in Loop: Header=BB1_27 Depth=1
	s_waitcnt lgkmcnt(0)
	s_barrier
	ds_read_b128 v[32:35], v126
	v_perm_b32 v61, v55, v54, s76
	v_perm_b32 v60, v53, v52, s76
	ds_read_b128 v[52:55], v129
	v_perm_b32 v63, v42, v40, s76
	v_perm_b32 v62, v38, v37, s76
	s_add_i32 s34, s34, 64
	s_waitcnt lgkmcnt(1)
	v_mfma_f32_32x32x8bf16_1k v[16:31], v[32:33], v[60:61], v[16:31]
	s_add_i32 s15, s15, 1
	v_add_u32_e32 v140, s71, v140
	s_cmp_lg_u32 s70, s34
	v_mfma_f32_32x32x8bf16_1k v[16:31], v[34:35], v[62:63], v[16:31]
	ds_read_b128 v[32:35], v131
	ds_read_b128 v[56:59], v132
	s_waitcnt lgkmcnt(1)
	v_mfma_f32_32x32x8bf16_1k v[0:15], v[32:33], v[60:61], v[0:15]
	v_perm_b32 v33, v45, v43, s76
	v_perm_b32 v32, v41, v39, s76
	v_mfma_f32_32x32x8bf16_1k v[0:15], v[34:35], v[62:63], v[0:15]
	v_perm_b32 v35, v51, v50, s76
	v_perm_b32 v34, v49, v44, s76
	s_waitcnt lgkmcnt(0)
	v_mfma_f32_32x32x8bf16_1k v[16:31], v[56:57], v[32:33], v[16:31]
	v_mfma_f32_32x32x8bf16_1k v[0:15], v[52:53], v[32:33], v[0:15]
	v_add_f32_e32 v32, v47, v48
	v_fmac_f32_e32 v32, v108, v36
	v_mfma_f32_32x32x8bf16_1k v[16:31], v[58:59], v[34:35], v[16:31]
	v_mfma_f32_32x32x8bf16_1k v[0:15], v[54:55], v[34:35], v[0:15]
	s_cbranch_scc0 .LBB1_38
; %bb.36:                               ;   in Loop: Header=BB1_27 Depth=1
	v_mov_b32_e32 v147, v46
	v_mov_b32_e32 v108, v32
	s_branch .LBB1_27
.LBB1_37:
                                        ; implicit-def: $vgpr7
                                        ; implicit-def: $vgpr5
                                        ; implicit-def: $vgpr11
                                        ; implicit-def: $vgpr9
                                        ; implicit-def: $vgpr19
                                        ; implicit-def: $vgpr17
                                        ; implicit-def: $vgpr23
                                        ; implicit-def: $vgpr21
                                        ; implicit-def: $vgpr27
                                        ; implicit-def: $vgpr25
                                        ; implicit-def: $vgpr35
                                        ; implicit-def: $vgpr33
                                        ; implicit-def: $vgpr39
                                        ; implicit-def: $vgpr37
                                        ; implicit-def: $vgpr43
                                        ; implicit-def: $vgpr41
                                        ; implicit-def: $vgpr101
	s_cbranch_execnz .LBB1_39
	s_branch .LBB1_40
.LBB1_38:
	v_log_f32_e32 v33, v32
	s_mov_b32 s4, 0x3f317217
	s_mov_b32 s5, 0x7f800000
	v_cvt_f64_f32_e32 v[34:35], v46
	v_mul_f32_e32 v36, 0x3f317217, v33
	v_fma_f32 v36, v33, s4, -v36
	v_fmac_f32_e32 v36, 0x3377d1cf, v33
	v_mac_f32_e32 v36, 0x3f317217, v33
	v_cmp_lt_f32_e64 vcc, |v33|, s5
	v_cndmask_b32_e32 v33, v33, v36, vcc
	s_mov_b32 s4, 0x3f1ff27
	v_cvt_f64_f32_e32 v[36:37], v33
	s_mov_b32 s5, 0x3fe62e43
	v_fmac_f64_e32 v[36:37], s[4:5], v[34:35]
	v_readfirstlane_b32 s4, v91
	v_lshl_add_u32 v34, s4, 5, v98
	v_cmp_le_i32_e32 vcc, s16, v34
	v_lshlrev_b32_e32 v35, 2, v34
	v_cndmask_b32_e64 v34, 0, 1, vcc
	v_cvt_f32_f64_e32 v33, v[36:37]
	s_lshl_b32 s38, s16, 2
	s_mov_b32 s39, 0x20000
	v_lshl_add_u32 v34, v34, 31, v35
	buffer_store_dword v33, v34, s[36:39], 0 offen
	v_div_scale_f32 v33, s[4:5], v32, v32, 1.0
	v_rcp_f32_e32 v34, v33
	v_div_scale_f32 v35, vcc, 1.0, v32, 1.0
	s_setreg_imm32_b32 hwreg(HW_REG_MODE, 4, 2), 3
	v_fma_f32 v36, -v33, v34, 1.0
	v_fmac_f32_e32 v34, v36, v34
	v_mul_f32_e32 v36, v35, v34
	v_fma_f32 v37, -v33, v36, v35
	v_fmac_f32_e32 v36, v37, v34
	v_fma_f32 v33, -v33, v36, v35
	s_setreg_imm32_b32 hwreg(HW_REG_MODE, 4, 2), 0
	v_div_fmas_f32 v33, v33, v34, v36
	v_div_fixup_f32 v33, v33, v32, 1.0
	v_cmp_neq_f32_e32 vcc, 0, v32
	v_cndmask_b32_e32 v44, 0, v33, vcc
	v_pk_mul_f32 v[40:41], v[44:45], v[16:17] op_sel_hi:[0,1]
	v_pk_mul_f32 v[42:43], v[44:45], v[18:19] op_sel_hi:[0,1]
	;; [unrolled: 1-line block ×16, first 2 shown]
	s_branch .LBB1_40
.LBB1_39:
	v_readfirstlane_b32 s4, v91
	v_lshl_add_u32 v1, s4, 5, v98
	;;#ASMSTART
	s_waitcnt vmcnt(0)
	;;#ASMEND
	v_cmp_le_i32_e32 vcc, s16, v1
	v_lshlrev_b32_e32 v2, 2, v1
	v_cndmask_b32_e64 v1, 0, 1, vcc
	v_mul_f32_e32 v0, s22, v99
	s_lshl_b32 s38, s16, 2
	s_mov_b32 s39, 0x20000
	v_lshl_add_u32 v1, v1, 31, v2
	v_mov_b32_e32 v40, 0
	v_mov_b32_e32 v101, v100
	;; [unrolled: 1-line block ×33, first 2 shown]
	buffer_store_dword v0, v1, s[36:39], 0 offen
.LBB1_40:
	s_mul_hi_i32 s5, s30, s8
	s_mul_i32 s4, s30, s8
	s_lshl_b64 s[4:5], s[4:5], 1
	s_add_u32 s6, s42, s4
	s_addc_u32 s7, s43, s5
	s_mul_hi_i32 s5, s9, s10
	s_mul_i32 s4, s9, s10
	s_lshl_b64 s[4:5], s[4:5], 1
	s_add_u32 s17, s6, s4
	s_mul_i32 s4, s26, s11
	v_mov_b32_e32 v0, 0x7fff
	s_addc_u32 s18, s7, s5
	s_add_u32 s20, s4, s14
	v_mov_b32_e32 v1, 0x7fff0000
	;;#ASMSTART
	
             v_cmp_u_f32 s[4:5], v40, v40 
             v_bfe_u32 v2, v40, 16, 1 
             v_add3_u32 v2, v40, v2, v0 
             v_cndmask_b32 v40, v2, v1, s[4:5] 
             v_lshrrev_b32 v40, 16, v40 
             
	;;#ASMEND
	;;#ASMSTART
	
             v_cmp_u_f32 s[4:5], v41, v41 
             v_bfe_u32 v2, v41, 16, 1 
             v_add3_u32 v2, v41, v2, v0 
             v_cndmask_b32 v41, v2, v1, s[4:5] 
             v_lshrrev_b32 v41, 16, v41 
             
	;;#ASMEND
	;; [unrolled: 9-line block ×32, first 2 shown]
	v_readfirstlane_b32 s4, v91
	v_and_b32_e32 v0, 0x1ffffffc, v101
	v_lshl_add_u32 v2, s4, 5, v98
	v_add_u32_e32 v12, s33, v0
	v_mad_u64_u32 v[0:1], s[4:5], v2, s26, v[12:13]
	v_cmp_gt_i32_e64 s[4:5], s19, v12
	v_cmp_gt_i32_e32 vcc, s16, v2
	s_and_b64 s[4:5], s[4:5], vcc
	v_lshlrev_b32_e32 v13, 1, v0
	s_and_saveexec_b64 s[12:13], s[4:5]
	s_cbranch_execz .LBB1_44
; %bb.41:
	s_mov_b32 s4, 0x5040100
	v_perm_b32 v15, v43, v42, s4
	v_perm_b32 v14, v41, v40, s4
	s_lshl_b32 s4, s20, 1
	s_bfe_u32 s5, s20, 0x180007
	v_mov_b32_e32 v1, 0xfe
	s_bfe_u32 s7, s20, 0x80017
	v_lshlrev_b16_e64 v0, 8, s5
	v_and_b32_e32 v1, s4, v1
	s_lshr_b32 s6, s20, 15
	v_or_b32_e32 v0, v1, v0
	v_lshlrev_b16_e64 v1, 8, s7
	v_or_b32_sdwa v1, s6, v1 dst_sel:WORD_1 dst_unused:UNUSED_PAD src0_sel:BYTE_0 src1_sel:DWORD
	v_or_b32_sdwa v2, v0, v1 dst_sel:DWORD dst_unused:UNUSED_PAD src0_sel:WORD_0 src1_sel:DWORD
	v_mov_b32_e32 v0, s17
	v_mov_b32_e32 v1, s18
	v_mov_b32_e32 v3, 0x20000
	s_mov_b64 s[14:15], exec
.LBB1_42:                               ; =>This Inner Loop Header: Depth=1
	v_readfirstlane_b32 s8, v0
	v_readfirstlane_b32 s9, v1
	;; [unrolled: 1-line block ×4, first 2 shown]
	v_cmp_eq_u64_e64 s[4:5], s[8:9], v[0:1]
	v_cmp_eq_u64_e64 s[6:7], s[10:11], v[2:3]
	s_and_b64 s[4:5], s[4:5], s[6:7]
	s_and_saveexec_b64 s[4:5], s[4:5]
	s_nop 0
	buffer_store_dwordx2 v[14:15], v13, s[8:11], 0 offen
                                        ; implicit-def: $vgpr0_vgpr1_vgpr2_vgpr3
                                        ; implicit-def: $vgpr14_vgpr15
	s_xor_b64 exec, exec, s[4:5]
	s_cbranch_execnz .LBB1_42
; %bb.43:
	s_mov_b64 exec, s[14:15]
.LBB1_44:
	s_or_b64 exec, exec, s[12:13]
	v_add_u32_e32 v0, 8, v12
	v_cmp_gt_i32_e64 s[4:5], s19, v0
	s_and_b64 s[4:5], s[4:5], vcc
	s_and_saveexec_b64 s[12:13], s[4:5]
	s_cbranch_execz .LBB1_48
; %bb.45:
	s_mov_b32 s4, 0x5040100
	v_perm_b32 v15, v39, v38, s4
	v_perm_b32 v14, v37, v36, s4
	s_lshl_b32 s4, s20, 1
	s_bfe_u32 s5, s20, 0x180007
	v_mov_b32_e32 v1, 0xfe
	s_bfe_u32 s7, s20, 0x80017
	v_lshlrev_b16_e64 v0, 8, s5
	v_and_b32_e32 v1, s4, v1
	s_lshr_b32 s6, s20, 15
	v_or_b32_e32 v0, v1, v0
	v_lshlrev_b16_e64 v1, 8, s7
	v_or_b32_sdwa v1, s6, v1 dst_sel:WORD_1 dst_unused:UNUSED_PAD src0_sel:BYTE_0 src1_sel:DWORD
	v_or_b32_sdwa v2, v0, v1 dst_sel:DWORD dst_unused:UNUSED_PAD src0_sel:WORD_0 src1_sel:DWORD
	v_mov_b32_e32 v0, s17
	v_mov_b32_e32 v1, s18
	v_mov_b32_e32 v3, 0x20000
	s_mov_b64 s[14:15], exec
.LBB1_46:                               ; =>This Inner Loop Header: Depth=1
	v_readfirstlane_b32 s8, v0
	v_readfirstlane_b32 s9, v1
	v_readfirstlane_b32 s10, v2
	v_readfirstlane_b32 s11, v3
	v_cmp_eq_u64_e64 s[4:5], s[8:9], v[0:1]
	v_cmp_eq_u64_e64 s[6:7], s[10:11], v[2:3]
	s_and_b64 s[4:5], s[4:5], s[6:7]
	s_and_saveexec_b64 s[4:5], s[4:5]
	s_nop 0
	buffer_store_dwordx2 v[14:15], v13, s[8:11], 0 offen offset:16
                                        ; implicit-def: $vgpr0_vgpr1_vgpr2_vgpr3
                                        ; implicit-def: $vgpr14_vgpr15
	s_xor_b64 exec, exec, s[4:5]
	s_cbranch_execnz .LBB1_46
; %bb.47:
	s_mov_b64 exec, s[14:15]
.LBB1_48:
	s_or_b64 exec, exec, s[12:13]
	v_add_u32_e32 v0, 16, v12
	v_cmp_gt_i32_e64 s[4:5], s19, v0
	s_and_b64 s[4:5], s[4:5], vcc
	s_and_saveexec_b64 s[12:13], s[4:5]
	s_cbranch_execz .LBB1_52
; %bb.49:
	s_mov_b32 s4, 0x5040100
	v_perm_b32 v15, v35, v34, s4
	v_perm_b32 v14, v33, v32, s4
	s_lshl_b32 s4, s20, 1
	s_bfe_u32 s5, s20, 0x180007
	v_mov_b32_e32 v1, 0xfe
	s_bfe_u32 s7, s20, 0x80017
	v_lshlrev_b16_e64 v0, 8, s5
	v_and_b32_e32 v1, s4, v1
	s_lshr_b32 s6, s20, 15
	v_or_b32_e32 v0, v1, v0
	v_lshlrev_b16_e64 v1, 8, s7
	v_or_b32_sdwa v1, s6, v1 dst_sel:WORD_1 dst_unused:UNUSED_PAD src0_sel:BYTE_0 src1_sel:DWORD
	v_or_b32_sdwa v2, v0, v1 dst_sel:DWORD dst_unused:UNUSED_PAD src0_sel:WORD_0 src1_sel:DWORD
	v_mov_b32_e32 v0, s17
	v_mov_b32_e32 v1, s18
	v_mov_b32_e32 v3, 0x20000
	s_mov_b64 s[14:15], exec
.LBB1_50:                               ; =>This Inner Loop Header: Depth=1
	v_readfirstlane_b32 s8, v0
	v_readfirstlane_b32 s9, v1
	v_readfirstlane_b32 s10, v2
	v_readfirstlane_b32 s11, v3
	v_cmp_eq_u64_e64 s[4:5], s[8:9], v[0:1]
	v_cmp_eq_u64_e64 s[6:7], s[10:11], v[2:3]
	s_and_b64 s[4:5], s[4:5], s[6:7]
	s_and_saveexec_b64 s[4:5], s[4:5]
	s_nop 0
	buffer_store_dwordx2 v[14:15], v13, s[8:11], 0 offen offset:32
                                        ; implicit-def: $vgpr0_vgpr1_vgpr2_vgpr3
                                        ; implicit-def: $vgpr14_vgpr15
	s_xor_b64 exec, exec, s[4:5]
	s_cbranch_execnz .LBB1_50
; %bb.51:
	s_mov_b64 exec, s[14:15]
.LBB1_52:
	;; [unrolled: 43-line block ×5, first 2 shown]
	s_or_b64 exec, exec, s[12:13]
	v_add_u32_e32 v0, 48, v12
	v_cmp_gt_i32_e64 s[4:5], s19, v0
	s_and_b64 s[4:5], s[4:5], vcc
	s_and_saveexec_b64 s[12:13], s[4:5]
	s_cbranch_execz .LBB1_68
; %bb.65:
	s_mov_b32 s4, 0x5040100
	v_perm_b32 v11, v11, v10, s4
	v_perm_b32 v10, v9, v8, s4
	s_lshl_b32 s4, s20, 1
	s_bfe_u32 s5, s20, 0x180007
	v_mov_b32_e32 v1, 0xfe
	s_bfe_u32 s7, s20, 0x80017
	v_lshlrev_b16_e64 v0, 8, s5
	v_and_b32_e32 v1, s4, v1
	s_lshr_b32 s6, s20, 15
	v_or_b32_e32 v0, v1, v0
	v_lshlrev_b16_e64 v1, 8, s7
	v_or_b32_sdwa v1, s6, v1 dst_sel:WORD_1 dst_unused:UNUSED_PAD src0_sel:BYTE_0 src1_sel:DWORD
	v_or_b32_sdwa v2, v0, v1 dst_sel:DWORD dst_unused:UNUSED_PAD src0_sel:WORD_0 src1_sel:DWORD
	v_mov_b32_e32 v0, s17
	v_mov_b32_e32 v1, s18
	;; [unrolled: 1-line block ×3, first 2 shown]
	s_mov_b64 s[14:15], exec
.LBB1_66:                               ; =>This Inner Loop Header: Depth=1
	v_readfirstlane_b32 s8, v0
	v_readfirstlane_b32 s9, v1
	;; [unrolled: 1-line block ×4, first 2 shown]
	v_cmp_eq_u64_e64 s[4:5], s[8:9], v[0:1]
	v_cmp_eq_u64_e64 s[6:7], s[10:11], v[2:3]
	s_and_b64 s[4:5], s[4:5], s[6:7]
	s_and_saveexec_b64 s[4:5], s[4:5]
	s_nop 0
	buffer_store_dwordx2 v[10:11], v13, s[8:11], 0 offen offset:96
                                        ; implicit-def: $vgpr0_vgpr1_vgpr2_vgpr3
                                        ; implicit-def: $vgpr10_vgpr11
	s_xor_b64 exec, exec, s[4:5]
	s_cbranch_execnz .LBB1_66
; %bb.67:
	s_mov_b64 exec, s[14:15]
.LBB1_68:
	s_or_b64 exec, exec, s[12:13]
	v_add_u32_e32 v0, 56, v12
	v_cmp_gt_i32_e64 s[4:5], s19, v0
	s_and_b64 s[4:5], s[4:5], vcc
	s_and_saveexec_b64 s[6:7], s[4:5]
	s_cbranch_execz .LBB1_72
; %bb.69:
	s_mov_b32 s4, 0x5040100
	v_perm_b32 v7, v7, v6, s4
	v_perm_b32 v6, v5, v4, s4
	s_lshl_b32 s4, s20, 1
	s_bfe_u32 s5, s20, 0x180007
	v_mov_b32_e32 v1, 0xfe
	s_bfe_u32 s9, s20, 0x80017
	v_lshlrev_b16_e64 v0, 8, s5
	v_and_b32_e32 v1, s4, v1
	s_lshr_b32 s8, s20, 15
	v_or_b32_e32 v0, v1, v0
	v_lshlrev_b16_e64 v1, 8, s9
	v_or_b32_sdwa v1, s8, v1 dst_sel:WORD_1 dst_unused:UNUSED_PAD src0_sel:BYTE_0 src1_sel:DWORD
	v_or_b32_sdwa v2, v0, v1 dst_sel:DWORD dst_unused:UNUSED_PAD src0_sel:WORD_0 src1_sel:DWORD
	v_mov_b32_e32 v0, s17
	v_mov_b32_e32 v1, s18
	;; [unrolled: 1-line block ×3, first 2 shown]
	s_mov_b64 s[12:13], exec
.LBB1_70:                               ; =>This Inner Loop Header: Depth=1
	v_readfirstlane_b32 s8, v0
	v_readfirstlane_b32 s9, v1
	;; [unrolled: 1-line block ×4, first 2 shown]
	v_cmp_eq_u64_e32 vcc, s[8:9], v[0:1]
	v_cmp_eq_u64_e64 s[4:5], s[10:11], v[2:3]
	s_and_b64 s[4:5], vcc, s[4:5]
	s_and_saveexec_b64 s[4:5], s[4:5]
	s_nop 0
	buffer_store_dwordx2 v[6:7], v13, s[8:11], 0 offen offset:112
                                        ; implicit-def: $vgpr0_vgpr1_vgpr2_vgpr3
                                        ; implicit-def: $vgpr6_vgpr7
                                        ; implicit-def: $vgpr13
	s_xor_b64 exec, exec, s[4:5]
	s_cbranch_execnz .LBB1_70
; %bb.71:
	s_mov_b64 exec, s[12:13]
.LBB1_72:
	s_or_b64 exec, exec, s[6:7]
	;;#ASMSTART
	s_waitcnt vmcnt(0)
	;;#ASMEND
	s_endpgm
.LBB1_73:
	v_mov_b32_e32 v99, 0xff800000
	s_ashr_i32 s11, s10, 31
	s_cmp_eq_u64 s[12:13], 0
	s_cbranch_scc0 .LBB1_2
	s_branch .LBB1_3
	.section	.rodata,"a",@progbits
	.p2align	6, 0x0
	.amdhsa_kernel _ZN7ck_tile6kentryINS_6gfx9_tELi3ENS_13FmhaFwdKernelINS_28BlockFmhaPipelineQRKSVSAsyncINS_24BlockFmhaPipelineProblemItttffthftftNS_13TileFmhaShapeINS_8sequenceIJLi128ELi64ELi32ELi64ELi32ELi64EEEENS6_IJLi4ELi1ELi1EEEENS6_IJLi32ELi32ELi16EEEES8_S9_Lb1EEELb0ENS_17ComposedAttentionILj4ELb1EEENS_30SimplifiedGenericAttentionMaskILb1EEELb0ENS_14TileFmhaTraitsILb1ELb0ELb1ELb1ELb1ELNS_22BlockAttentionBiasEnumE0ELb0ELb1ELb1ELNS_28BlockAttentionQuantScaleEnumE0ELin1ELb0ELb0EEEEENS_35BlockFmhaPipelineQXKSVSCustomPolicyILb1ELb1ELi3ELi3EEEEENS_17Default2DEpilogueINS_24Default2DEpilogueProblemIftLb1ELb1ELb1EEEvEEEEJNSR_21FmhaFwdBatchModeKargsEEEENSt9enable_ifIXnt26kattr_no_packed_fp32_ops_vIT_EEvE4typeEDpT2_
		.amdhsa_group_segment_fixed_size 17952
		.amdhsa_private_segment_fixed_size 208
		.amdhsa_kernarg_size 496
		.amdhsa_user_sgpr_count 8
		.amdhsa_user_sgpr_private_segment_buffer 1
		.amdhsa_user_sgpr_dispatch_ptr 0
		.amdhsa_user_sgpr_queue_ptr 0
		.amdhsa_user_sgpr_kernarg_segment_ptr 1
		.amdhsa_user_sgpr_dispatch_id 0
		.amdhsa_user_sgpr_flat_scratch_init 1
		.amdhsa_user_sgpr_kernarg_preload_length 0
		.amdhsa_user_sgpr_kernarg_preload_offset 0
		.amdhsa_user_sgpr_private_segment_size 0
		.amdhsa_uses_dynamic_stack 0
		.amdhsa_system_sgpr_private_segment_wavefront_offset 1
		.amdhsa_system_sgpr_workgroup_id_x 1
		.amdhsa_system_sgpr_workgroup_id_y 1
		.amdhsa_system_sgpr_workgroup_id_z 1
		.amdhsa_system_sgpr_workgroup_info 0
		.amdhsa_system_vgpr_workitem_id 0
		.amdhsa_next_free_vgpr 163
		.amdhsa_next_free_sgpr 82
		.amdhsa_accum_offset 164
		.amdhsa_reserve_vcc 1
		.amdhsa_reserve_flat_scratch 1
		.amdhsa_float_round_mode_32 0
		.amdhsa_float_round_mode_16_64 0
		.amdhsa_float_denorm_mode_32 0
		.amdhsa_float_denorm_mode_16_64 3
		.amdhsa_dx10_clamp 1
		.amdhsa_ieee_mode 1
		.amdhsa_fp16_overflow 0
		.amdhsa_tg_split 0
		.amdhsa_exception_fp_ieee_invalid_op 0
		.amdhsa_exception_fp_denorm_src 0
		.amdhsa_exception_fp_ieee_div_zero 0
		.amdhsa_exception_fp_ieee_overflow 0
		.amdhsa_exception_fp_ieee_underflow 0
		.amdhsa_exception_fp_ieee_inexact 0
		.amdhsa_exception_int_div_zero 0
	.end_amdhsa_kernel
	.section	.text._ZN7ck_tile6kentryINS_6gfx9_tELi3ENS_13FmhaFwdKernelINS_28BlockFmhaPipelineQRKSVSAsyncINS_24BlockFmhaPipelineProblemItttffthftftNS_13TileFmhaShapeINS_8sequenceIJLi128ELi64ELi32ELi64ELi32ELi64EEEENS6_IJLi4ELi1ELi1EEEENS6_IJLi32ELi32ELi16EEEES8_S9_Lb1EEELb0ENS_17ComposedAttentionILj4ELb1EEENS_30SimplifiedGenericAttentionMaskILb1EEELb0ENS_14TileFmhaTraitsILb1ELb0ELb1ELb1ELb1ELNS_22BlockAttentionBiasEnumE0ELb0ELb1ELb1ELNS_28BlockAttentionQuantScaleEnumE0ELin1ELb0ELb0EEEEENS_35BlockFmhaPipelineQXKSVSCustomPolicyILb1ELb1ELi3ELi3EEEEENS_17Default2DEpilogueINS_24Default2DEpilogueProblemIftLb1ELb1ELb1EEEvEEEEJNSR_21FmhaFwdBatchModeKargsEEEENSt9enable_ifIXnt26kattr_no_packed_fp32_ops_vIT_EEvE4typeEDpT2_,"axG",@progbits,_ZN7ck_tile6kentryINS_6gfx9_tELi3ENS_13FmhaFwdKernelINS_28BlockFmhaPipelineQRKSVSAsyncINS_24BlockFmhaPipelineProblemItttffthftftNS_13TileFmhaShapeINS_8sequenceIJLi128ELi64ELi32ELi64ELi32ELi64EEEENS6_IJLi4ELi1ELi1EEEENS6_IJLi32ELi32ELi16EEEES8_S9_Lb1EEELb0ENS_17ComposedAttentionILj4ELb1EEENS_30SimplifiedGenericAttentionMaskILb1EEELb0ENS_14TileFmhaTraitsILb1ELb0ELb1ELb1ELb1ELNS_22BlockAttentionBiasEnumE0ELb0ELb1ELb1ELNS_28BlockAttentionQuantScaleEnumE0ELin1ELb0ELb0EEEEENS_35BlockFmhaPipelineQXKSVSCustomPolicyILb1ELb1ELi3ELi3EEEEENS_17Default2DEpilogueINS_24Default2DEpilogueProblemIftLb1ELb1ELb1EEEvEEEEJNSR_21FmhaFwdBatchModeKargsEEEENSt9enable_ifIXnt26kattr_no_packed_fp32_ops_vIT_EEvE4typeEDpT2_,comdat
.Lfunc_end1:
	.size	_ZN7ck_tile6kentryINS_6gfx9_tELi3ENS_13FmhaFwdKernelINS_28BlockFmhaPipelineQRKSVSAsyncINS_24BlockFmhaPipelineProblemItttffthftftNS_13TileFmhaShapeINS_8sequenceIJLi128ELi64ELi32ELi64ELi32ELi64EEEENS6_IJLi4ELi1ELi1EEEENS6_IJLi32ELi32ELi16EEEES8_S9_Lb1EEELb0ENS_17ComposedAttentionILj4ELb1EEENS_30SimplifiedGenericAttentionMaskILb1EEELb0ENS_14TileFmhaTraitsILb1ELb0ELb1ELb1ELb1ELNS_22BlockAttentionBiasEnumE0ELb0ELb1ELb1ELNS_28BlockAttentionQuantScaleEnumE0ELin1ELb0ELb0EEEEENS_35BlockFmhaPipelineQXKSVSCustomPolicyILb1ELb1ELi3ELi3EEEEENS_17Default2DEpilogueINS_24Default2DEpilogueProblemIftLb1ELb1ELb1EEEvEEEEJNSR_21FmhaFwdBatchModeKargsEEEENSt9enable_ifIXnt26kattr_no_packed_fp32_ops_vIT_EEvE4typeEDpT2_, .Lfunc_end1-_ZN7ck_tile6kentryINS_6gfx9_tELi3ENS_13FmhaFwdKernelINS_28BlockFmhaPipelineQRKSVSAsyncINS_24BlockFmhaPipelineProblemItttffthftftNS_13TileFmhaShapeINS_8sequenceIJLi128ELi64ELi32ELi64ELi32ELi64EEEENS6_IJLi4ELi1ELi1EEEENS6_IJLi32ELi32ELi16EEEES8_S9_Lb1EEELb0ENS_17ComposedAttentionILj4ELb1EEENS_30SimplifiedGenericAttentionMaskILb1EEELb0ENS_14TileFmhaTraitsILb1ELb0ELb1ELb1ELb1ELNS_22BlockAttentionBiasEnumE0ELb0ELb1ELb1ELNS_28BlockAttentionQuantScaleEnumE0ELin1ELb0ELb0EEEEENS_35BlockFmhaPipelineQXKSVSCustomPolicyILb1ELb1ELi3ELi3EEEEENS_17Default2DEpilogueINS_24Default2DEpilogueProblemIftLb1ELb1ELb1EEEvEEEEJNSR_21FmhaFwdBatchModeKargsEEEENSt9enable_ifIXnt26kattr_no_packed_fp32_ops_vIT_EEvE4typeEDpT2_
                                        ; -- End function
	.section	.AMDGPU.csdata,"",@progbits
; Kernel info:
; codeLenInByte = 14020
; NumSgprs: 88
; NumVgprs: 163
; NumAgprs: 0
; TotalNumVgprs: 163
; ScratchSize: 208
; MemoryBound: 0
; FloatMode: 192
; IeeeMode: 1
; LDSByteSize: 17952 bytes/workgroup (compile time only)
; SGPRBlocks: 10
; VGPRBlocks: 20
; NumSGPRsForWavesPerEU: 88
; NumVGPRsForWavesPerEU: 163
; AccumOffset: 164
; Occupancy: 3
; WaveLimiterHint : 0
; COMPUTE_PGM_RSRC2:SCRATCH_EN: 1
; COMPUTE_PGM_RSRC2:USER_SGPR: 8
; COMPUTE_PGM_RSRC2:TRAP_HANDLER: 0
; COMPUTE_PGM_RSRC2:TGID_X_EN: 1
; COMPUTE_PGM_RSRC2:TGID_Y_EN: 1
; COMPUTE_PGM_RSRC2:TGID_Z_EN: 1
; COMPUTE_PGM_RSRC2:TIDIG_COMP_CNT: 0
; COMPUTE_PGM_RSRC3_GFX90A:ACCUM_OFFSET: 40
; COMPUTE_PGM_RSRC3_GFX90A:TG_SPLIT: 0
	.text
	.p2alignl 6, 3212836864
	.fill 256, 4, 3212836864
	.type	__hip_cuid_682c106e2b56ecb7,@object ; @__hip_cuid_682c106e2b56ecb7
	.section	.bss,"aw",@nobits
	.globl	__hip_cuid_682c106e2b56ecb7
__hip_cuid_682c106e2b56ecb7:
	.byte	0                               ; 0x0
	.size	__hip_cuid_682c106e2b56ecb7, 1

	.ident	"AMD clang version 19.0.0git (https://github.com/RadeonOpenCompute/llvm-project roc-6.4.0 25133 c7fe45cf4b819c5991fe208aaa96edf142730f1d)"
	.section	".note.GNU-stack","",@progbits
	.addrsig
	.addrsig_sym __hip_cuid_682c106e2b56ecb7
	.amdgpu_metadata
---
amdhsa.kernels:
  - .agpr_count:     0
    .args:           []
    .group_segment_fixed_size: 0
    .kernarg_segment_align: 4
    .kernarg_segment_size: 0
    .language:       OpenCL C
    .language_version:
      - 2
      - 0
    .max_flat_workgroup_size: 1024
    .name:           _ZN7ck_tileL11flush_cacheEv
    .private_segment_fixed_size: 0
    .sgpr_count:     4
    .sgpr_spill_count: 0
    .symbol:         _ZN7ck_tileL11flush_cacheEv.kd
    .uses_dynamic_stack: false
    .vgpr_count:     0
    .vgpr_spill_count: 0
    .wavefront_size: 64
  - .agpr_count:     0
    .args:
      - .offset:         0
        .size:           240
        .value_kind:     by_value
      - .offset:         240
        .size:           4
        .value_kind:     hidden_block_count_x
      - .offset:         244
        .size:           4
        .value_kind:     hidden_block_count_y
      - .offset:         248
        .size:           4
        .value_kind:     hidden_block_count_z
      - .offset:         252
        .size:           2
        .value_kind:     hidden_group_size_x
      - .offset:         254
        .size:           2
        .value_kind:     hidden_group_size_y
      - .offset:         256
        .size:           2
        .value_kind:     hidden_group_size_z
      - .offset:         258
        .size:           2
        .value_kind:     hidden_remainder_x
      - .offset:         260
        .size:           2
        .value_kind:     hidden_remainder_y
      - .offset:         262
        .size:           2
        .value_kind:     hidden_remainder_z
      - .offset:         280
        .size:           8
        .value_kind:     hidden_global_offset_x
      - .offset:         288
        .size:           8
        .value_kind:     hidden_global_offset_y
      - .offset:         296
        .size:           8
        .value_kind:     hidden_global_offset_z
      - .offset:         304
        .size:           2
        .value_kind:     hidden_grid_dims
    .group_segment_fixed_size: 17952
    .kernarg_segment_align: 8
    .kernarg_segment_size: 496
    .language:       OpenCL C
    .language_version:
      - 2
      - 0
    .max_flat_workgroup_size: 256
    .name:           _ZN7ck_tile6kentryINS_6gfx9_tELi3ENS_13FmhaFwdKernelINS_28BlockFmhaPipelineQRKSVSAsyncINS_24BlockFmhaPipelineProblemItttffthftftNS_13TileFmhaShapeINS_8sequenceIJLi128ELi64ELi32ELi64ELi32ELi64EEEENS6_IJLi4ELi1ELi1EEEENS6_IJLi32ELi32ELi16EEEES8_S9_Lb1EEELb0ENS_17ComposedAttentionILj4ELb1EEENS_30SimplifiedGenericAttentionMaskILb1EEELb0ENS_14TileFmhaTraitsILb1ELb0ELb1ELb1ELb1ELNS_22BlockAttentionBiasEnumE0ELb0ELb1ELb1ELNS_28BlockAttentionQuantScaleEnumE0ELin1ELb0ELb0EEEEENS_35BlockFmhaPipelineQXKSVSCustomPolicyILb1ELb1ELi3ELi3EEEEENS_17Default2DEpilogueINS_24Default2DEpilogueProblemIftLb1ELb1ELb1EEEvEEEEJNSR_21FmhaFwdBatchModeKargsEEEENSt9enable_ifIXnt26kattr_no_packed_fp32_ops_vIT_EEvE4typeEDpT2_
    .private_segment_fixed_size: 208
    .sgpr_count:     88
    .sgpr_spill_count: 0
    .symbol:         _ZN7ck_tile6kentryINS_6gfx9_tELi3ENS_13FmhaFwdKernelINS_28BlockFmhaPipelineQRKSVSAsyncINS_24BlockFmhaPipelineProblemItttffthftftNS_13TileFmhaShapeINS_8sequenceIJLi128ELi64ELi32ELi64ELi32ELi64EEEENS6_IJLi4ELi1ELi1EEEENS6_IJLi32ELi32ELi16EEEES8_S9_Lb1EEELb0ENS_17ComposedAttentionILj4ELb1EEENS_30SimplifiedGenericAttentionMaskILb1EEELb0ENS_14TileFmhaTraitsILb1ELb0ELb1ELb1ELb1ELNS_22BlockAttentionBiasEnumE0ELb0ELb1ELb1ELNS_28BlockAttentionQuantScaleEnumE0ELin1ELb0ELb0EEEEENS_35BlockFmhaPipelineQXKSVSCustomPolicyILb1ELb1ELi3ELi3EEEEENS_17Default2DEpilogueINS_24Default2DEpilogueProblemIftLb1ELb1ELb1EEEvEEEEJNSR_21FmhaFwdBatchModeKargsEEEENSt9enable_ifIXnt26kattr_no_packed_fp32_ops_vIT_EEvE4typeEDpT2_.kd
    .uses_dynamic_stack: false
    .vgpr_count:     163
    .vgpr_spill_count: 0
    .wavefront_size: 64
amdhsa.target:   amdgcn-amd-amdhsa--gfx90a
amdhsa.version:
  - 1
  - 2
...

	.end_amdgpu_metadata
